;; amdgpu-corpus repo=ROCm/rocThrust kind=compiled arch=gfx1201 opt=O3
	.amdgcn_target "amdgcn-amd-amdhsa--gfx1201"
	.amdhsa_code_object_version 6
	.section	.text._ZN6thrust23THRUST_200600_302600_NS11hip_rocprim14__parallel_for6kernelILj256ENS1_20__uninitialized_fill7functorINS0_10device_ptrIiEEiEEmLj1EEEvT0_T1_SA_,"axG",@progbits,_ZN6thrust23THRUST_200600_302600_NS11hip_rocprim14__parallel_for6kernelILj256ENS1_20__uninitialized_fill7functorINS0_10device_ptrIiEEiEEmLj1EEEvT0_T1_SA_,comdat
	.protected	_ZN6thrust23THRUST_200600_302600_NS11hip_rocprim14__parallel_for6kernelILj256ENS1_20__uninitialized_fill7functorINS0_10device_ptrIiEEiEEmLj1EEEvT0_T1_SA_ ; -- Begin function _ZN6thrust23THRUST_200600_302600_NS11hip_rocprim14__parallel_for6kernelILj256ENS1_20__uninitialized_fill7functorINS0_10device_ptrIiEEiEEmLj1EEEvT0_T1_SA_
	.globl	_ZN6thrust23THRUST_200600_302600_NS11hip_rocprim14__parallel_for6kernelILj256ENS1_20__uninitialized_fill7functorINS0_10device_ptrIiEEiEEmLj1EEEvT0_T1_SA_
	.p2align	8
	.type	_ZN6thrust23THRUST_200600_302600_NS11hip_rocprim14__parallel_for6kernelILj256ENS1_20__uninitialized_fill7functorINS0_10device_ptrIiEEiEEmLj1EEEvT0_T1_SA_,@function
_ZN6thrust23THRUST_200600_302600_NS11hip_rocprim14__parallel_for6kernelILj256ENS1_20__uninitialized_fill7functorINS0_10device_ptrIiEEiEEmLj1EEEvT0_T1_SA_: ; @_ZN6thrust23THRUST_200600_302600_NS11hip_rocprim14__parallel_for6kernelILj256ENS1_20__uninitialized_fill7functorINS0_10device_ptrIiEEiEEmLj1EEEvT0_T1_SA_
; %bb.0:
	s_clause 0x1
	s_load_b128 s[8:11], s[0:1], 0x10
	s_load_b96 s[0:2], s[0:1], 0x0
	s_lshl_b32 s4, ttmp9, 8
	s_mov_b32 s5, 0
	s_wait_kmcnt 0x0
	s_add_nc_u64 s[4:5], s[10:11], s[4:5]
	s_delay_alu instid0(SALU_CYCLE_1) | instskip(NEXT) | instid1(SALU_CYCLE_1)
	s_sub_nc_u64 s[6:7], s[8:9], s[4:5]
	v_cmp_lt_u64_e64 s3, 0xff, s[6:7]
	s_and_b32 vcc_lo, exec_lo, s3
	s_mov_b32 s3, -1
	s_cbranch_vccz .LBB0_3
; %bb.1:
	s_and_not1_b32 vcc_lo, exec_lo, s3
	s_cbranch_vccz .LBB0_6
.LBB0_2:
	s_endpgm
.LBB0_3:
	s_mov_b32 s3, exec_lo
	v_cmpx_gt_u32_e64 s6, v0
	s_cbranch_execz .LBB0_5
; %bb.4:
	v_lshlrev_b32_e32 v1, 2, v0
	s_lshl_b64 s[6:7], s[4:5], 2
	v_mov_b32_e32 v3, s2
	s_wait_alu 0xfffe
	s_add_nc_u64 s[6:7], s[0:1], s[6:7]
	s_wait_alu 0xfffe
	v_add_co_u32 v1, s6, s6, v1
	s_wait_alu 0xf1ff
	v_add_co_ci_u32_e64 v2, null, s7, 0, s6
	flat_store_b32 v[1:2], v3
.LBB0_5:
	s_or_b32 exec_lo, exec_lo, s3
	s_cbranch_execnz .LBB0_2
.LBB0_6:
	v_lshlrev_b32_e32 v0, 2, v0
	s_lshl_b64 s[4:5], s[4:5], 2
	v_mov_b32_e32 v2, s2
	s_add_nc_u64 s[0:1], s[0:1], s[4:5]
	s_delay_alu instid0(VALU_DEP_2) | instid1(SALU_CYCLE_1)
	v_add_co_u32 v0, s0, s0, v0
	s_wait_alu 0xf1ff
	v_add_co_ci_u32_e64 v1, null, s1, 0, s0
	flat_store_b32 v[0:1], v2
	s_endpgm
	.section	.rodata,"a",@progbits
	.p2align	6, 0x0
	.amdhsa_kernel _ZN6thrust23THRUST_200600_302600_NS11hip_rocprim14__parallel_for6kernelILj256ENS1_20__uninitialized_fill7functorINS0_10device_ptrIiEEiEEmLj1EEEvT0_T1_SA_
		.amdhsa_group_segment_fixed_size 0
		.amdhsa_private_segment_fixed_size 0
		.amdhsa_kernarg_size 32
		.amdhsa_user_sgpr_count 2
		.amdhsa_user_sgpr_dispatch_ptr 0
		.amdhsa_user_sgpr_queue_ptr 0
		.amdhsa_user_sgpr_kernarg_segment_ptr 1
		.amdhsa_user_sgpr_dispatch_id 0
		.amdhsa_user_sgpr_private_segment_size 0
		.amdhsa_wavefront_size32 1
		.amdhsa_uses_dynamic_stack 0
		.amdhsa_enable_private_segment 0
		.amdhsa_system_sgpr_workgroup_id_x 1
		.amdhsa_system_sgpr_workgroup_id_y 0
		.amdhsa_system_sgpr_workgroup_id_z 0
		.amdhsa_system_sgpr_workgroup_info 0
		.amdhsa_system_vgpr_workitem_id 0
		.amdhsa_next_free_vgpr 4
		.amdhsa_next_free_sgpr 12
		.amdhsa_reserve_vcc 1
		.amdhsa_float_round_mode_32 0
		.amdhsa_float_round_mode_16_64 0
		.amdhsa_float_denorm_mode_32 3
		.amdhsa_float_denorm_mode_16_64 3
		.amdhsa_fp16_overflow 0
		.amdhsa_workgroup_processor_mode 1
		.amdhsa_memory_ordered 1
		.amdhsa_forward_progress 1
		.amdhsa_inst_pref_size 2
		.amdhsa_round_robin_scheduling 0
		.amdhsa_exception_fp_ieee_invalid_op 0
		.amdhsa_exception_fp_denorm_src 0
		.amdhsa_exception_fp_ieee_div_zero 0
		.amdhsa_exception_fp_ieee_overflow 0
		.amdhsa_exception_fp_ieee_underflow 0
		.amdhsa_exception_fp_ieee_inexact 0
		.amdhsa_exception_int_div_zero 0
	.end_amdhsa_kernel
	.section	.text._ZN6thrust23THRUST_200600_302600_NS11hip_rocprim14__parallel_for6kernelILj256ENS1_20__uninitialized_fill7functorINS0_10device_ptrIiEEiEEmLj1EEEvT0_T1_SA_,"axG",@progbits,_ZN6thrust23THRUST_200600_302600_NS11hip_rocprim14__parallel_for6kernelILj256ENS1_20__uninitialized_fill7functorINS0_10device_ptrIiEEiEEmLj1EEEvT0_T1_SA_,comdat
.Lfunc_end0:
	.size	_ZN6thrust23THRUST_200600_302600_NS11hip_rocprim14__parallel_for6kernelILj256ENS1_20__uninitialized_fill7functorINS0_10device_ptrIiEEiEEmLj1EEEvT0_T1_SA_, .Lfunc_end0-_ZN6thrust23THRUST_200600_302600_NS11hip_rocprim14__parallel_for6kernelILj256ENS1_20__uninitialized_fill7functorINS0_10device_ptrIiEEiEEmLj1EEEvT0_T1_SA_
                                        ; -- End function
	.set _ZN6thrust23THRUST_200600_302600_NS11hip_rocprim14__parallel_for6kernelILj256ENS1_20__uninitialized_fill7functorINS0_10device_ptrIiEEiEEmLj1EEEvT0_T1_SA_.num_vgpr, 4
	.set _ZN6thrust23THRUST_200600_302600_NS11hip_rocprim14__parallel_for6kernelILj256ENS1_20__uninitialized_fill7functorINS0_10device_ptrIiEEiEEmLj1EEEvT0_T1_SA_.num_agpr, 0
	.set _ZN6thrust23THRUST_200600_302600_NS11hip_rocprim14__parallel_for6kernelILj256ENS1_20__uninitialized_fill7functorINS0_10device_ptrIiEEiEEmLj1EEEvT0_T1_SA_.numbered_sgpr, 12
	.set _ZN6thrust23THRUST_200600_302600_NS11hip_rocprim14__parallel_for6kernelILj256ENS1_20__uninitialized_fill7functorINS0_10device_ptrIiEEiEEmLj1EEEvT0_T1_SA_.num_named_barrier, 0
	.set _ZN6thrust23THRUST_200600_302600_NS11hip_rocprim14__parallel_for6kernelILj256ENS1_20__uninitialized_fill7functorINS0_10device_ptrIiEEiEEmLj1EEEvT0_T1_SA_.private_seg_size, 0
	.set _ZN6thrust23THRUST_200600_302600_NS11hip_rocprim14__parallel_for6kernelILj256ENS1_20__uninitialized_fill7functorINS0_10device_ptrIiEEiEEmLj1EEEvT0_T1_SA_.uses_vcc, 1
	.set _ZN6thrust23THRUST_200600_302600_NS11hip_rocprim14__parallel_for6kernelILj256ENS1_20__uninitialized_fill7functorINS0_10device_ptrIiEEiEEmLj1EEEvT0_T1_SA_.uses_flat_scratch, 0
	.set _ZN6thrust23THRUST_200600_302600_NS11hip_rocprim14__parallel_for6kernelILj256ENS1_20__uninitialized_fill7functorINS0_10device_ptrIiEEiEEmLj1EEEvT0_T1_SA_.has_dyn_sized_stack, 0
	.set _ZN6thrust23THRUST_200600_302600_NS11hip_rocprim14__parallel_for6kernelILj256ENS1_20__uninitialized_fill7functorINS0_10device_ptrIiEEiEEmLj1EEEvT0_T1_SA_.has_recursion, 0
	.set _ZN6thrust23THRUST_200600_302600_NS11hip_rocprim14__parallel_for6kernelILj256ENS1_20__uninitialized_fill7functorINS0_10device_ptrIiEEiEEmLj1EEEvT0_T1_SA_.has_indirect_call, 0
	.section	.AMDGPU.csdata,"",@progbits
; Kernel info:
; codeLenInByte = 216
; TotalNumSgprs: 14
; NumVgprs: 4
; ScratchSize: 0
; MemoryBound: 0
; FloatMode: 240
; IeeeMode: 1
; LDSByteSize: 0 bytes/workgroup (compile time only)
; SGPRBlocks: 0
; VGPRBlocks: 0
; NumSGPRsForWavesPerEU: 14
; NumVGPRsForWavesPerEU: 4
; Occupancy: 16
; WaveLimiterHint : 0
; COMPUTE_PGM_RSRC2:SCRATCH_EN: 0
; COMPUTE_PGM_RSRC2:USER_SGPR: 2
; COMPUTE_PGM_RSRC2:TRAP_HANDLER: 0
; COMPUTE_PGM_RSRC2:TGID_X_EN: 1
; COMPUTE_PGM_RSRC2:TGID_Y_EN: 0
; COMPUTE_PGM_RSRC2:TGID_Z_EN: 0
; COMPUTE_PGM_RSRC2:TIDIG_COMP_CNT: 0
	.section	.text._ZN7rocprim17ROCPRIM_400000_NS6detail31init_lookback_scan_state_kernelINS1_19lookback_scan_stateImLb0ELb1EEENS1_16block_id_wrapperIjLb0EEEEEvT_jT0_jPNS7_10value_typeE,"axG",@progbits,_ZN7rocprim17ROCPRIM_400000_NS6detail31init_lookback_scan_state_kernelINS1_19lookback_scan_stateImLb0ELb1EEENS1_16block_id_wrapperIjLb0EEEEEvT_jT0_jPNS7_10value_typeE,comdat
	.protected	_ZN7rocprim17ROCPRIM_400000_NS6detail31init_lookback_scan_state_kernelINS1_19lookback_scan_stateImLb0ELb1EEENS1_16block_id_wrapperIjLb0EEEEEvT_jT0_jPNS7_10value_typeE ; -- Begin function _ZN7rocprim17ROCPRIM_400000_NS6detail31init_lookback_scan_state_kernelINS1_19lookback_scan_stateImLb0ELb1EEENS1_16block_id_wrapperIjLb0EEEEEvT_jT0_jPNS7_10value_typeE
	.globl	_ZN7rocprim17ROCPRIM_400000_NS6detail31init_lookback_scan_state_kernelINS1_19lookback_scan_stateImLb0ELb1EEENS1_16block_id_wrapperIjLb0EEEEEvT_jT0_jPNS7_10value_typeE
	.p2align	8
	.type	_ZN7rocprim17ROCPRIM_400000_NS6detail31init_lookback_scan_state_kernelINS1_19lookback_scan_stateImLb0ELb1EEENS1_16block_id_wrapperIjLb0EEEEEvT_jT0_jPNS7_10value_typeE,@function
_ZN7rocprim17ROCPRIM_400000_NS6detail31init_lookback_scan_state_kernelINS1_19lookback_scan_stateImLb0ELb1EEENS1_16block_id_wrapperIjLb0EEEEEvT_jT0_jPNS7_10value_typeE: ; @_ZN7rocprim17ROCPRIM_400000_NS6detail31init_lookback_scan_state_kernelINS1_19lookback_scan_stateImLb0ELb1EEENS1_16block_id_wrapperIjLb0EEEEEvT_jT0_jPNS7_10value_typeE
; %bb.0:
	s_clause 0x2
	s_load_b32 s7, s[0:1], 0x2c
	s_load_b64 s[2:3], s[0:1], 0x18
	s_load_b96 s[4:6], s[0:1], 0x0
	s_wait_kmcnt 0x0
	s_and_b32 s7, s7, 0xffff
	s_cmp_eq_u64 s[2:3], 0
	v_mad_co_u64_u32 v[0:1], null, ttmp9, s7, v[0:1]
	s_cbranch_scc1 .LBB1_8
; %bb.1:
	s_load_b32 s0, s[0:1], 0x10
	s_wait_kmcnt 0x0
	s_cmp_lt_u32 s0, s6
	s_cselect_b32 s1, s0, 0
	s_wait_alu 0xfffe
	v_cmp_eq_u32_e32 vcc_lo, s1, v0
	s_mov_b32 s1, 0
	s_and_saveexec_b32 s7, vcc_lo
	s_cbranch_execz .LBB1_7
; %bb.2:
	s_add_co_i32 s0, s0, 32
	s_mov_b32 s8, exec_lo
	s_wait_alu 0xfffe
	s_lshl_b64 s[0:1], s[0:1], 4
	v_mov_b32_e32 v5, 0
	s_wait_alu 0xfffe
	s_add_nc_u64 s[0:1], s[4:5], s[0:1]
	s_wait_alu 0xfffe
	v_dual_mov_b32 v2, s1 :: v_dual_mov_b32 v1, s0
	;;#ASMSTART
	global_load_b128 v[1:4], v[1:2] off scope:SCOPE_DEV	
s_wait_loadcnt 0x0
	;;#ASMEND
	v_and_b32_e32 v4, 0xff, v3
	s_delay_alu instid0(VALU_DEP_1)
	v_cmpx_eq_u64_e32 0, v[4:5]
	s_cbranch_execz .LBB1_6
; %bb.3:
	v_dual_mov_b32 v7, s1 :: v_dual_mov_b32 v6, s0
	s_mov_b32 s0, 0
.LBB1_4:                                ; =>This Inner Loop Header: Depth=1
	;;#ASMSTART
	global_load_b128 v[1:4], v[6:7] off scope:SCOPE_DEV	
s_wait_loadcnt 0x0
	;;#ASMEND
	v_and_b32_e32 v4, 0xff, v3
	s_delay_alu instid0(VALU_DEP_1)
	v_cmp_ne_u64_e32 vcc_lo, 0, v[4:5]
	s_wait_alu 0xfffe
	s_or_b32 s0, vcc_lo, s0
	s_wait_alu 0xfffe
	s_and_not1_b32 exec_lo, exec_lo, s0
	s_cbranch_execnz .LBB1_4
; %bb.5:
	s_or_b32 exec_lo, exec_lo, s0
.LBB1_6:
	s_delay_alu instid0(SALU_CYCLE_1)
	s_or_b32 exec_lo, exec_lo, s8
	v_mov_b32_e32 v3, 0
	global_store_b64 v3, v[1:2], s[2:3]
.LBB1_7:
	s_wait_alu 0xfffe
	s_or_b32 exec_lo, exec_lo, s7
.LBB1_8:
	s_delay_alu instid0(SALU_CYCLE_1)
	s_mov_b32 s0, exec_lo
	v_cmpx_gt_u32_e64 s6, v0
	s_cbranch_execz .LBB1_10
; %bb.9:
	v_dual_mov_b32 v2, 0 :: v_dual_add_nc_u32 v1, 32, v0
	s_delay_alu instid0(VALU_DEP_1) | instskip(SKIP_2) | instid1(VALU_DEP_3)
	v_lshlrev_b64_e32 v[4:5], 4, v[1:2]
	v_mov_b32_e32 v1, v2
	v_mov_b32_e32 v3, v2
	v_add_co_u32 v6, vcc_lo, s4, v4
	s_delay_alu instid0(VALU_DEP_1)
	v_add_co_ci_u32_e64 v7, null, s5, v5, vcc_lo
	v_mov_b32_e32 v4, v2
	global_store_b128 v[6:7], v[1:4], off
.LBB1_10:
	s_wait_alu 0xfffe
	s_or_b32 exec_lo, exec_lo, s0
	s_delay_alu instid0(SALU_CYCLE_1)
	s_mov_b32 s0, exec_lo
	v_cmpx_gt_u32_e32 32, v0
	s_cbranch_execz .LBB1_12
; %bb.11:
	v_dual_mov_b32 v1, 0 :: v_dual_mov_b32 v2, 0xff
	s_delay_alu instid0(VALU_DEP_1) | instskip(SKIP_1) | instid1(VALU_DEP_2)
	v_lshlrev_b64_e32 v[3:4], 4, v[0:1]
	v_mov_b32_e32 v0, v1
	v_add_co_u32 v5, vcc_lo, s4, v3
	s_wait_alu 0xfffd
	s_delay_alu instid0(VALU_DEP_3)
	v_add_co_ci_u32_e64 v6, null, s5, v4, vcc_lo
	v_mov_b32_e32 v3, v1
	global_store_b128 v[5:6], v[0:3], off
.LBB1_12:
	s_endpgm
	.section	.rodata,"a",@progbits
	.p2align	6, 0x0
	.amdhsa_kernel _ZN7rocprim17ROCPRIM_400000_NS6detail31init_lookback_scan_state_kernelINS1_19lookback_scan_stateImLb0ELb1EEENS1_16block_id_wrapperIjLb0EEEEEvT_jT0_jPNS7_10value_typeE
		.amdhsa_group_segment_fixed_size 0
		.amdhsa_private_segment_fixed_size 0
		.amdhsa_kernarg_size 288
		.amdhsa_user_sgpr_count 2
		.amdhsa_user_sgpr_dispatch_ptr 0
		.amdhsa_user_sgpr_queue_ptr 0
		.amdhsa_user_sgpr_kernarg_segment_ptr 1
		.amdhsa_user_sgpr_dispatch_id 0
		.amdhsa_user_sgpr_private_segment_size 0
		.amdhsa_wavefront_size32 1
		.amdhsa_uses_dynamic_stack 0
		.amdhsa_enable_private_segment 0
		.amdhsa_system_sgpr_workgroup_id_x 1
		.amdhsa_system_sgpr_workgroup_id_y 0
		.amdhsa_system_sgpr_workgroup_id_z 0
		.amdhsa_system_sgpr_workgroup_info 0
		.amdhsa_system_vgpr_workitem_id 0
		.amdhsa_next_free_vgpr 8
		.amdhsa_next_free_sgpr 9
		.amdhsa_reserve_vcc 1
		.amdhsa_float_round_mode_32 0
		.amdhsa_float_round_mode_16_64 0
		.amdhsa_float_denorm_mode_32 3
		.amdhsa_float_denorm_mode_16_64 3
		.amdhsa_fp16_overflow 0
		.amdhsa_workgroup_processor_mode 1
		.amdhsa_memory_ordered 1
		.amdhsa_forward_progress 1
		.amdhsa_inst_pref_size 4
		.amdhsa_round_robin_scheduling 0
		.amdhsa_exception_fp_ieee_invalid_op 0
		.amdhsa_exception_fp_denorm_src 0
		.amdhsa_exception_fp_ieee_div_zero 0
		.amdhsa_exception_fp_ieee_overflow 0
		.amdhsa_exception_fp_ieee_underflow 0
		.amdhsa_exception_fp_ieee_inexact 0
		.amdhsa_exception_int_div_zero 0
	.end_amdhsa_kernel
	.section	.text._ZN7rocprim17ROCPRIM_400000_NS6detail31init_lookback_scan_state_kernelINS1_19lookback_scan_stateImLb0ELb1EEENS1_16block_id_wrapperIjLb0EEEEEvT_jT0_jPNS7_10value_typeE,"axG",@progbits,_ZN7rocprim17ROCPRIM_400000_NS6detail31init_lookback_scan_state_kernelINS1_19lookback_scan_stateImLb0ELb1EEENS1_16block_id_wrapperIjLb0EEEEEvT_jT0_jPNS7_10value_typeE,comdat
.Lfunc_end1:
	.size	_ZN7rocprim17ROCPRIM_400000_NS6detail31init_lookback_scan_state_kernelINS1_19lookback_scan_stateImLb0ELb1EEENS1_16block_id_wrapperIjLb0EEEEEvT_jT0_jPNS7_10value_typeE, .Lfunc_end1-_ZN7rocprim17ROCPRIM_400000_NS6detail31init_lookback_scan_state_kernelINS1_19lookback_scan_stateImLb0ELb1EEENS1_16block_id_wrapperIjLb0EEEEEvT_jT0_jPNS7_10value_typeE
                                        ; -- End function
	.set _ZN7rocprim17ROCPRIM_400000_NS6detail31init_lookback_scan_state_kernelINS1_19lookback_scan_stateImLb0ELb1EEENS1_16block_id_wrapperIjLb0EEEEEvT_jT0_jPNS7_10value_typeE.num_vgpr, 8
	.set _ZN7rocprim17ROCPRIM_400000_NS6detail31init_lookback_scan_state_kernelINS1_19lookback_scan_stateImLb0ELb1EEENS1_16block_id_wrapperIjLb0EEEEEvT_jT0_jPNS7_10value_typeE.num_agpr, 0
	.set _ZN7rocprim17ROCPRIM_400000_NS6detail31init_lookback_scan_state_kernelINS1_19lookback_scan_stateImLb0ELb1EEENS1_16block_id_wrapperIjLb0EEEEEvT_jT0_jPNS7_10value_typeE.numbered_sgpr, 9
	.set _ZN7rocprim17ROCPRIM_400000_NS6detail31init_lookback_scan_state_kernelINS1_19lookback_scan_stateImLb0ELb1EEENS1_16block_id_wrapperIjLb0EEEEEvT_jT0_jPNS7_10value_typeE.num_named_barrier, 0
	.set _ZN7rocprim17ROCPRIM_400000_NS6detail31init_lookback_scan_state_kernelINS1_19lookback_scan_stateImLb0ELb1EEENS1_16block_id_wrapperIjLb0EEEEEvT_jT0_jPNS7_10value_typeE.private_seg_size, 0
	.set _ZN7rocprim17ROCPRIM_400000_NS6detail31init_lookback_scan_state_kernelINS1_19lookback_scan_stateImLb0ELb1EEENS1_16block_id_wrapperIjLb0EEEEEvT_jT0_jPNS7_10value_typeE.uses_vcc, 1
	.set _ZN7rocprim17ROCPRIM_400000_NS6detail31init_lookback_scan_state_kernelINS1_19lookback_scan_stateImLb0ELb1EEENS1_16block_id_wrapperIjLb0EEEEEvT_jT0_jPNS7_10value_typeE.uses_flat_scratch, 0
	.set _ZN7rocprim17ROCPRIM_400000_NS6detail31init_lookback_scan_state_kernelINS1_19lookback_scan_stateImLb0ELb1EEENS1_16block_id_wrapperIjLb0EEEEEvT_jT0_jPNS7_10value_typeE.has_dyn_sized_stack, 0
	.set _ZN7rocprim17ROCPRIM_400000_NS6detail31init_lookback_scan_state_kernelINS1_19lookback_scan_stateImLb0ELb1EEENS1_16block_id_wrapperIjLb0EEEEEvT_jT0_jPNS7_10value_typeE.has_recursion, 0
	.set _ZN7rocprim17ROCPRIM_400000_NS6detail31init_lookback_scan_state_kernelINS1_19lookback_scan_stateImLb0ELb1EEENS1_16block_id_wrapperIjLb0EEEEEvT_jT0_jPNS7_10value_typeE.has_indirect_call, 0
	.section	.AMDGPU.csdata,"",@progbits
; Kernel info:
; codeLenInByte = 412
; TotalNumSgprs: 11
; NumVgprs: 8
; ScratchSize: 0
; MemoryBound: 0
; FloatMode: 240
; IeeeMode: 1
; LDSByteSize: 0 bytes/workgroup (compile time only)
; SGPRBlocks: 0
; VGPRBlocks: 0
; NumSGPRsForWavesPerEU: 11
; NumVGPRsForWavesPerEU: 8
; Occupancy: 16
; WaveLimiterHint : 0
; COMPUTE_PGM_RSRC2:SCRATCH_EN: 0
; COMPUTE_PGM_RSRC2:USER_SGPR: 2
; COMPUTE_PGM_RSRC2:TRAP_HANDLER: 0
; COMPUTE_PGM_RSRC2:TGID_X_EN: 1
; COMPUTE_PGM_RSRC2:TGID_Y_EN: 0
; COMPUTE_PGM_RSRC2:TGID_Z_EN: 0
; COMPUTE_PGM_RSRC2:TIDIG_COMP_CNT: 0
	.section	.text._ZN7rocprim17ROCPRIM_400000_NS6detail17trampoline_kernelINS0_14default_configENS1_25partition_config_selectorILNS1_17partition_subalgoE5EiNS0_10empty_typeEbEEZZNS1_14partition_implILS5_5ELb0ES3_mN6thrust23THRUST_200600_302600_NS17counting_iteratorIiNSA_11use_defaultESC_SC_EEPS6_NSA_18transform_iteratorINSA_8identityIiEENSA_6detail15normal_iteratorINSA_10device_ptrIiEEEESC_SC_EENS0_5tupleIJSM_S6_EEENSO_IJSE_SE_EEES6_PlJS6_EEE10hipError_tPvRmT3_T4_T5_T6_T7_T9_mT8_P12ihipStream_tbDpT10_ENKUlT_T0_E_clISt17integral_constantIbLb0EES1B_EEDaS16_S17_EUlS16_E_NS1_11comp_targetILNS1_3genE0ELNS1_11target_archE4294967295ELNS1_3gpuE0ELNS1_3repE0EEENS1_30default_config_static_selectorELNS0_4arch9wavefront6targetE0EEEvT1_,"axG",@progbits,_ZN7rocprim17ROCPRIM_400000_NS6detail17trampoline_kernelINS0_14default_configENS1_25partition_config_selectorILNS1_17partition_subalgoE5EiNS0_10empty_typeEbEEZZNS1_14partition_implILS5_5ELb0ES3_mN6thrust23THRUST_200600_302600_NS17counting_iteratorIiNSA_11use_defaultESC_SC_EEPS6_NSA_18transform_iteratorINSA_8identityIiEENSA_6detail15normal_iteratorINSA_10device_ptrIiEEEESC_SC_EENS0_5tupleIJSM_S6_EEENSO_IJSE_SE_EEES6_PlJS6_EEE10hipError_tPvRmT3_T4_T5_T6_T7_T9_mT8_P12ihipStream_tbDpT10_ENKUlT_T0_E_clISt17integral_constantIbLb0EES1B_EEDaS16_S17_EUlS16_E_NS1_11comp_targetILNS1_3genE0ELNS1_11target_archE4294967295ELNS1_3gpuE0ELNS1_3repE0EEENS1_30default_config_static_selectorELNS0_4arch9wavefront6targetE0EEEvT1_,comdat
	.protected	_ZN7rocprim17ROCPRIM_400000_NS6detail17trampoline_kernelINS0_14default_configENS1_25partition_config_selectorILNS1_17partition_subalgoE5EiNS0_10empty_typeEbEEZZNS1_14partition_implILS5_5ELb0ES3_mN6thrust23THRUST_200600_302600_NS17counting_iteratorIiNSA_11use_defaultESC_SC_EEPS6_NSA_18transform_iteratorINSA_8identityIiEENSA_6detail15normal_iteratorINSA_10device_ptrIiEEEESC_SC_EENS0_5tupleIJSM_S6_EEENSO_IJSE_SE_EEES6_PlJS6_EEE10hipError_tPvRmT3_T4_T5_T6_T7_T9_mT8_P12ihipStream_tbDpT10_ENKUlT_T0_E_clISt17integral_constantIbLb0EES1B_EEDaS16_S17_EUlS16_E_NS1_11comp_targetILNS1_3genE0ELNS1_11target_archE4294967295ELNS1_3gpuE0ELNS1_3repE0EEENS1_30default_config_static_selectorELNS0_4arch9wavefront6targetE0EEEvT1_ ; -- Begin function _ZN7rocprim17ROCPRIM_400000_NS6detail17trampoline_kernelINS0_14default_configENS1_25partition_config_selectorILNS1_17partition_subalgoE5EiNS0_10empty_typeEbEEZZNS1_14partition_implILS5_5ELb0ES3_mN6thrust23THRUST_200600_302600_NS17counting_iteratorIiNSA_11use_defaultESC_SC_EEPS6_NSA_18transform_iteratorINSA_8identityIiEENSA_6detail15normal_iteratorINSA_10device_ptrIiEEEESC_SC_EENS0_5tupleIJSM_S6_EEENSO_IJSE_SE_EEES6_PlJS6_EEE10hipError_tPvRmT3_T4_T5_T6_T7_T9_mT8_P12ihipStream_tbDpT10_ENKUlT_T0_E_clISt17integral_constantIbLb0EES1B_EEDaS16_S17_EUlS16_E_NS1_11comp_targetILNS1_3genE0ELNS1_11target_archE4294967295ELNS1_3gpuE0ELNS1_3repE0EEENS1_30default_config_static_selectorELNS0_4arch9wavefront6targetE0EEEvT1_
	.globl	_ZN7rocprim17ROCPRIM_400000_NS6detail17trampoline_kernelINS0_14default_configENS1_25partition_config_selectorILNS1_17partition_subalgoE5EiNS0_10empty_typeEbEEZZNS1_14partition_implILS5_5ELb0ES3_mN6thrust23THRUST_200600_302600_NS17counting_iteratorIiNSA_11use_defaultESC_SC_EEPS6_NSA_18transform_iteratorINSA_8identityIiEENSA_6detail15normal_iteratorINSA_10device_ptrIiEEEESC_SC_EENS0_5tupleIJSM_S6_EEENSO_IJSE_SE_EEES6_PlJS6_EEE10hipError_tPvRmT3_T4_T5_T6_T7_T9_mT8_P12ihipStream_tbDpT10_ENKUlT_T0_E_clISt17integral_constantIbLb0EES1B_EEDaS16_S17_EUlS16_E_NS1_11comp_targetILNS1_3genE0ELNS1_11target_archE4294967295ELNS1_3gpuE0ELNS1_3repE0EEENS1_30default_config_static_selectorELNS0_4arch9wavefront6targetE0EEEvT1_
	.p2align	8
	.type	_ZN7rocprim17ROCPRIM_400000_NS6detail17trampoline_kernelINS0_14default_configENS1_25partition_config_selectorILNS1_17partition_subalgoE5EiNS0_10empty_typeEbEEZZNS1_14partition_implILS5_5ELb0ES3_mN6thrust23THRUST_200600_302600_NS17counting_iteratorIiNSA_11use_defaultESC_SC_EEPS6_NSA_18transform_iteratorINSA_8identityIiEENSA_6detail15normal_iteratorINSA_10device_ptrIiEEEESC_SC_EENS0_5tupleIJSM_S6_EEENSO_IJSE_SE_EEES6_PlJS6_EEE10hipError_tPvRmT3_T4_T5_T6_T7_T9_mT8_P12ihipStream_tbDpT10_ENKUlT_T0_E_clISt17integral_constantIbLb0EES1B_EEDaS16_S17_EUlS16_E_NS1_11comp_targetILNS1_3genE0ELNS1_11target_archE4294967295ELNS1_3gpuE0ELNS1_3repE0EEENS1_30default_config_static_selectorELNS0_4arch9wavefront6targetE0EEEvT1_,@function
_ZN7rocprim17ROCPRIM_400000_NS6detail17trampoline_kernelINS0_14default_configENS1_25partition_config_selectorILNS1_17partition_subalgoE5EiNS0_10empty_typeEbEEZZNS1_14partition_implILS5_5ELb0ES3_mN6thrust23THRUST_200600_302600_NS17counting_iteratorIiNSA_11use_defaultESC_SC_EEPS6_NSA_18transform_iteratorINSA_8identityIiEENSA_6detail15normal_iteratorINSA_10device_ptrIiEEEESC_SC_EENS0_5tupleIJSM_S6_EEENSO_IJSE_SE_EEES6_PlJS6_EEE10hipError_tPvRmT3_T4_T5_T6_T7_T9_mT8_P12ihipStream_tbDpT10_ENKUlT_T0_E_clISt17integral_constantIbLb0EES1B_EEDaS16_S17_EUlS16_E_NS1_11comp_targetILNS1_3genE0ELNS1_11target_archE4294967295ELNS1_3gpuE0ELNS1_3repE0EEENS1_30default_config_static_selectorELNS0_4arch9wavefront6targetE0EEEvT1_: ; @_ZN7rocprim17ROCPRIM_400000_NS6detail17trampoline_kernelINS0_14default_configENS1_25partition_config_selectorILNS1_17partition_subalgoE5EiNS0_10empty_typeEbEEZZNS1_14partition_implILS5_5ELb0ES3_mN6thrust23THRUST_200600_302600_NS17counting_iteratorIiNSA_11use_defaultESC_SC_EEPS6_NSA_18transform_iteratorINSA_8identityIiEENSA_6detail15normal_iteratorINSA_10device_ptrIiEEEESC_SC_EENS0_5tupleIJSM_S6_EEENSO_IJSE_SE_EEES6_PlJS6_EEE10hipError_tPvRmT3_T4_T5_T6_T7_T9_mT8_P12ihipStream_tbDpT10_ENKUlT_T0_E_clISt17integral_constantIbLb0EES1B_EEDaS16_S17_EUlS16_E_NS1_11comp_targetILNS1_3genE0ELNS1_11target_archE4294967295ELNS1_3gpuE0ELNS1_3repE0EEENS1_30default_config_static_selectorELNS0_4arch9wavefront6targetE0EEEvT1_
; %bb.0:
	.section	.rodata,"a",@progbits
	.p2align	6, 0x0
	.amdhsa_kernel _ZN7rocprim17ROCPRIM_400000_NS6detail17trampoline_kernelINS0_14default_configENS1_25partition_config_selectorILNS1_17partition_subalgoE5EiNS0_10empty_typeEbEEZZNS1_14partition_implILS5_5ELb0ES3_mN6thrust23THRUST_200600_302600_NS17counting_iteratorIiNSA_11use_defaultESC_SC_EEPS6_NSA_18transform_iteratorINSA_8identityIiEENSA_6detail15normal_iteratorINSA_10device_ptrIiEEEESC_SC_EENS0_5tupleIJSM_S6_EEENSO_IJSE_SE_EEES6_PlJS6_EEE10hipError_tPvRmT3_T4_T5_T6_T7_T9_mT8_P12ihipStream_tbDpT10_ENKUlT_T0_E_clISt17integral_constantIbLb0EES1B_EEDaS16_S17_EUlS16_E_NS1_11comp_targetILNS1_3genE0ELNS1_11target_archE4294967295ELNS1_3gpuE0ELNS1_3repE0EEENS1_30default_config_static_selectorELNS0_4arch9wavefront6targetE0EEEvT1_
		.amdhsa_group_segment_fixed_size 0
		.amdhsa_private_segment_fixed_size 0
		.amdhsa_kernarg_size 120
		.amdhsa_user_sgpr_count 2
		.amdhsa_user_sgpr_dispatch_ptr 0
		.amdhsa_user_sgpr_queue_ptr 0
		.amdhsa_user_sgpr_kernarg_segment_ptr 1
		.amdhsa_user_sgpr_dispatch_id 0
		.amdhsa_user_sgpr_private_segment_size 0
		.amdhsa_wavefront_size32 1
		.amdhsa_uses_dynamic_stack 0
		.amdhsa_enable_private_segment 0
		.amdhsa_system_sgpr_workgroup_id_x 1
		.amdhsa_system_sgpr_workgroup_id_y 0
		.amdhsa_system_sgpr_workgroup_id_z 0
		.amdhsa_system_sgpr_workgroup_info 0
		.amdhsa_system_vgpr_workitem_id 0
		.amdhsa_next_free_vgpr 1
		.amdhsa_next_free_sgpr 1
		.amdhsa_reserve_vcc 0
		.amdhsa_float_round_mode_32 0
		.amdhsa_float_round_mode_16_64 0
		.amdhsa_float_denorm_mode_32 3
		.amdhsa_float_denorm_mode_16_64 3
		.amdhsa_fp16_overflow 0
		.amdhsa_workgroup_processor_mode 1
		.amdhsa_memory_ordered 1
		.amdhsa_forward_progress 1
		.amdhsa_inst_pref_size 0
		.amdhsa_round_robin_scheduling 0
		.amdhsa_exception_fp_ieee_invalid_op 0
		.amdhsa_exception_fp_denorm_src 0
		.amdhsa_exception_fp_ieee_div_zero 0
		.amdhsa_exception_fp_ieee_overflow 0
		.amdhsa_exception_fp_ieee_underflow 0
		.amdhsa_exception_fp_ieee_inexact 0
		.amdhsa_exception_int_div_zero 0
	.end_amdhsa_kernel
	.section	.text._ZN7rocprim17ROCPRIM_400000_NS6detail17trampoline_kernelINS0_14default_configENS1_25partition_config_selectorILNS1_17partition_subalgoE5EiNS0_10empty_typeEbEEZZNS1_14partition_implILS5_5ELb0ES3_mN6thrust23THRUST_200600_302600_NS17counting_iteratorIiNSA_11use_defaultESC_SC_EEPS6_NSA_18transform_iteratorINSA_8identityIiEENSA_6detail15normal_iteratorINSA_10device_ptrIiEEEESC_SC_EENS0_5tupleIJSM_S6_EEENSO_IJSE_SE_EEES6_PlJS6_EEE10hipError_tPvRmT3_T4_T5_T6_T7_T9_mT8_P12ihipStream_tbDpT10_ENKUlT_T0_E_clISt17integral_constantIbLb0EES1B_EEDaS16_S17_EUlS16_E_NS1_11comp_targetILNS1_3genE0ELNS1_11target_archE4294967295ELNS1_3gpuE0ELNS1_3repE0EEENS1_30default_config_static_selectorELNS0_4arch9wavefront6targetE0EEEvT1_,"axG",@progbits,_ZN7rocprim17ROCPRIM_400000_NS6detail17trampoline_kernelINS0_14default_configENS1_25partition_config_selectorILNS1_17partition_subalgoE5EiNS0_10empty_typeEbEEZZNS1_14partition_implILS5_5ELb0ES3_mN6thrust23THRUST_200600_302600_NS17counting_iteratorIiNSA_11use_defaultESC_SC_EEPS6_NSA_18transform_iteratorINSA_8identityIiEENSA_6detail15normal_iteratorINSA_10device_ptrIiEEEESC_SC_EENS0_5tupleIJSM_S6_EEENSO_IJSE_SE_EEES6_PlJS6_EEE10hipError_tPvRmT3_T4_T5_T6_T7_T9_mT8_P12ihipStream_tbDpT10_ENKUlT_T0_E_clISt17integral_constantIbLb0EES1B_EEDaS16_S17_EUlS16_E_NS1_11comp_targetILNS1_3genE0ELNS1_11target_archE4294967295ELNS1_3gpuE0ELNS1_3repE0EEENS1_30default_config_static_selectorELNS0_4arch9wavefront6targetE0EEEvT1_,comdat
.Lfunc_end2:
	.size	_ZN7rocprim17ROCPRIM_400000_NS6detail17trampoline_kernelINS0_14default_configENS1_25partition_config_selectorILNS1_17partition_subalgoE5EiNS0_10empty_typeEbEEZZNS1_14partition_implILS5_5ELb0ES3_mN6thrust23THRUST_200600_302600_NS17counting_iteratorIiNSA_11use_defaultESC_SC_EEPS6_NSA_18transform_iteratorINSA_8identityIiEENSA_6detail15normal_iteratorINSA_10device_ptrIiEEEESC_SC_EENS0_5tupleIJSM_S6_EEENSO_IJSE_SE_EEES6_PlJS6_EEE10hipError_tPvRmT3_T4_T5_T6_T7_T9_mT8_P12ihipStream_tbDpT10_ENKUlT_T0_E_clISt17integral_constantIbLb0EES1B_EEDaS16_S17_EUlS16_E_NS1_11comp_targetILNS1_3genE0ELNS1_11target_archE4294967295ELNS1_3gpuE0ELNS1_3repE0EEENS1_30default_config_static_selectorELNS0_4arch9wavefront6targetE0EEEvT1_, .Lfunc_end2-_ZN7rocprim17ROCPRIM_400000_NS6detail17trampoline_kernelINS0_14default_configENS1_25partition_config_selectorILNS1_17partition_subalgoE5EiNS0_10empty_typeEbEEZZNS1_14partition_implILS5_5ELb0ES3_mN6thrust23THRUST_200600_302600_NS17counting_iteratorIiNSA_11use_defaultESC_SC_EEPS6_NSA_18transform_iteratorINSA_8identityIiEENSA_6detail15normal_iteratorINSA_10device_ptrIiEEEESC_SC_EENS0_5tupleIJSM_S6_EEENSO_IJSE_SE_EEES6_PlJS6_EEE10hipError_tPvRmT3_T4_T5_T6_T7_T9_mT8_P12ihipStream_tbDpT10_ENKUlT_T0_E_clISt17integral_constantIbLb0EES1B_EEDaS16_S17_EUlS16_E_NS1_11comp_targetILNS1_3genE0ELNS1_11target_archE4294967295ELNS1_3gpuE0ELNS1_3repE0EEENS1_30default_config_static_selectorELNS0_4arch9wavefront6targetE0EEEvT1_
                                        ; -- End function
	.set _ZN7rocprim17ROCPRIM_400000_NS6detail17trampoline_kernelINS0_14default_configENS1_25partition_config_selectorILNS1_17partition_subalgoE5EiNS0_10empty_typeEbEEZZNS1_14partition_implILS5_5ELb0ES3_mN6thrust23THRUST_200600_302600_NS17counting_iteratorIiNSA_11use_defaultESC_SC_EEPS6_NSA_18transform_iteratorINSA_8identityIiEENSA_6detail15normal_iteratorINSA_10device_ptrIiEEEESC_SC_EENS0_5tupleIJSM_S6_EEENSO_IJSE_SE_EEES6_PlJS6_EEE10hipError_tPvRmT3_T4_T5_T6_T7_T9_mT8_P12ihipStream_tbDpT10_ENKUlT_T0_E_clISt17integral_constantIbLb0EES1B_EEDaS16_S17_EUlS16_E_NS1_11comp_targetILNS1_3genE0ELNS1_11target_archE4294967295ELNS1_3gpuE0ELNS1_3repE0EEENS1_30default_config_static_selectorELNS0_4arch9wavefront6targetE0EEEvT1_.num_vgpr, 0
	.set _ZN7rocprim17ROCPRIM_400000_NS6detail17trampoline_kernelINS0_14default_configENS1_25partition_config_selectorILNS1_17partition_subalgoE5EiNS0_10empty_typeEbEEZZNS1_14partition_implILS5_5ELb0ES3_mN6thrust23THRUST_200600_302600_NS17counting_iteratorIiNSA_11use_defaultESC_SC_EEPS6_NSA_18transform_iteratorINSA_8identityIiEENSA_6detail15normal_iteratorINSA_10device_ptrIiEEEESC_SC_EENS0_5tupleIJSM_S6_EEENSO_IJSE_SE_EEES6_PlJS6_EEE10hipError_tPvRmT3_T4_T5_T6_T7_T9_mT8_P12ihipStream_tbDpT10_ENKUlT_T0_E_clISt17integral_constantIbLb0EES1B_EEDaS16_S17_EUlS16_E_NS1_11comp_targetILNS1_3genE0ELNS1_11target_archE4294967295ELNS1_3gpuE0ELNS1_3repE0EEENS1_30default_config_static_selectorELNS0_4arch9wavefront6targetE0EEEvT1_.num_agpr, 0
	.set _ZN7rocprim17ROCPRIM_400000_NS6detail17trampoline_kernelINS0_14default_configENS1_25partition_config_selectorILNS1_17partition_subalgoE5EiNS0_10empty_typeEbEEZZNS1_14partition_implILS5_5ELb0ES3_mN6thrust23THRUST_200600_302600_NS17counting_iteratorIiNSA_11use_defaultESC_SC_EEPS6_NSA_18transform_iteratorINSA_8identityIiEENSA_6detail15normal_iteratorINSA_10device_ptrIiEEEESC_SC_EENS0_5tupleIJSM_S6_EEENSO_IJSE_SE_EEES6_PlJS6_EEE10hipError_tPvRmT3_T4_T5_T6_T7_T9_mT8_P12ihipStream_tbDpT10_ENKUlT_T0_E_clISt17integral_constantIbLb0EES1B_EEDaS16_S17_EUlS16_E_NS1_11comp_targetILNS1_3genE0ELNS1_11target_archE4294967295ELNS1_3gpuE0ELNS1_3repE0EEENS1_30default_config_static_selectorELNS0_4arch9wavefront6targetE0EEEvT1_.numbered_sgpr, 0
	.set _ZN7rocprim17ROCPRIM_400000_NS6detail17trampoline_kernelINS0_14default_configENS1_25partition_config_selectorILNS1_17partition_subalgoE5EiNS0_10empty_typeEbEEZZNS1_14partition_implILS5_5ELb0ES3_mN6thrust23THRUST_200600_302600_NS17counting_iteratorIiNSA_11use_defaultESC_SC_EEPS6_NSA_18transform_iteratorINSA_8identityIiEENSA_6detail15normal_iteratorINSA_10device_ptrIiEEEESC_SC_EENS0_5tupleIJSM_S6_EEENSO_IJSE_SE_EEES6_PlJS6_EEE10hipError_tPvRmT3_T4_T5_T6_T7_T9_mT8_P12ihipStream_tbDpT10_ENKUlT_T0_E_clISt17integral_constantIbLb0EES1B_EEDaS16_S17_EUlS16_E_NS1_11comp_targetILNS1_3genE0ELNS1_11target_archE4294967295ELNS1_3gpuE0ELNS1_3repE0EEENS1_30default_config_static_selectorELNS0_4arch9wavefront6targetE0EEEvT1_.num_named_barrier, 0
	.set _ZN7rocprim17ROCPRIM_400000_NS6detail17trampoline_kernelINS0_14default_configENS1_25partition_config_selectorILNS1_17partition_subalgoE5EiNS0_10empty_typeEbEEZZNS1_14partition_implILS5_5ELb0ES3_mN6thrust23THRUST_200600_302600_NS17counting_iteratorIiNSA_11use_defaultESC_SC_EEPS6_NSA_18transform_iteratorINSA_8identityIiEENSA_6detail15normal_iteratorINSA_10device_ptrIiEEEESC_SC_EENS0_5tupleIJSM_S6_EEENSO_IJSE_SE_EEES6_PlJS6_EEE10hipError_tPvRmT3_T4_T5_T6_T7_T9_mT8_P12ihipStream_tbDpT10_ENKUlT_T0_E_clISt17integral_constantIbLb0EES1B_EEDaS16_S17_EUlS16_E_NS1_11comp_targetILNS1_3genE0ELNS1_11target_archE4294967295ELNS1_3gpuE0ELNS1_3repE0EEENS1_30default_config_static_selectorELNS0_4arch9wavefront6targetE0EEEvT1_.private_seg_size, 0
	.set _ZN7rocprim17ROCPRIM_400000_NS6detail17trampoline_kernelINS0_14default_configENS1_25partition_config_selectorILNS1_17partition_subalgoE5EiNS0_10empty_typeEbEEZZNS1_14partition_implILS5_5ELb0ES3_mN6thrust23THRUST_200600_302600_NS17counting_iteratorIiNSA_11use_defaultESC_SC_EEPS6_NSA_18transform_iteratorINSA_8identityIiEENSA_6detail15normal_iteratorINSA_10device_ptrIiEEEESC_SC_EENS0_5tupleIJSM_S6_EEENSO_IJSE_SE_EEES6_PlJS6_EEE10hipError_tPvRmT3_T4_T5_T6_T7_T9_mT8_P12ihipStream_tbDpT10_ENKUlT_T0_E_clISt17integral_constantIbLb0EES1B_EEDaS16_S17_EUlS16_E_NS1_11comp_targetILNS1_3genE0ELNS1_11target_archE4294967295ELNS1_3gpuE0ELNS1_3repE0EEENS1_30default_config_static_selectorELNS0_4arch9wavefront6targetE0EEEvT1_.uses_vcc, 0
	.set _ZN7rocprim17ROCPRIM_400000_NS6detail17trampoline_kernelINS0_14default_configENS1_25partition_config_selectorILNS1_17partition_subalgoE5EiNS0_10empty_typeEbEEZZNS1_14partition_implILS5_5ELb0ES3_mN6thrust23THRUST_200600_302600_NS17counting_iteratorIiNSA_11use_defaultESC_SC_EEPS6_NSA_18transform_iteratorINSA_8identityIiEENSA_6detail15normal_iteratorINSA_10device_ptrIiEEEESC_SC_EENS0_5tupleIJSM_S6_EEENSO_IJSE_SE_EEES6_PlJS6_EEE10hipError_tPvRmT3_T4_T5_T6_T7_T9_mT8_P12ihipStream_tbDpT10_ENKUlT_T0_E_clISt17integral_constantIbLb0EES1B_EEDaS16_S17_EUlS16_E_NS1_11comp_targetILNS1_3genE0ELNS1_11target_archE4294967295ELNS1_3gpuE0ELNS1_3repE0EEENS1_30default_config_static_selectorELNS0_4arch9wavefront6targetE0EEEvT1_.uses_flat_scratch, 0
	.set _ZN7rocprim17ROCPRIM_400000_NS6detail17trampoline_kernelINS0_14default_configENS1_25partition_config_selectorILNS1_17partition_subalgoE5EiNS0_10empty_typeEbEEZZNS1_14partition_implILS5_5ELb0ES3_mN6thrust23THRUST_200600_302600_NS17counting_iteratorIiNSA_11use_defaultESC_SC_EEPS6_NSA_18transform_iteratorINSA_8identityIiEENSA_6detail15normal_iteratorINSA_10device_ptrIiEEEESC_SC_EENS0_5tupleIJSM_S6_EEENSO_IJSE_SE_EEES6_PlJS6_EEE10hipError_tPvRmT3_T4_T5_T6_T7_T9_mT8_P12ihipStream_tbDpT10_ENKUlT_T0_E_clISt17integral_constantIbLb0EES1B_EEDaS16_S17_EUlS16_E_NS1_11comp_targetILNS1_3genE0ELNS1_11target_archE4294967295ELNS1_3gpuE0ELNS1_3repE0EEENS1_30default_config_static_selectorELNS0_4arch9wavefront6targetE0EEEvT1_.has_dyn_sized_stack, 0
	.set _ZN7rocprim17ROCPRIM_400000_NS6detail17trampoline_kernelINS0_14default_configENS1_25partition_config_selectorILNS1_17partition_subalgoE5EiNS0_10empty_typeEbEEZZNS1_14partition_implILS5_5ELb0ES3_mN6thrust23THRUST_200600_302600_NS17counting_iteratorIiNSA_11use_defaultESC_SC_EEPS6_NSA_18transform_iteratorINSA_8identityIiEENSA_6detail15normal_iteratorINSA_10device_ptrIiEEEESC_SC_EENS0_5tupleIJSM_S6_EEENSO_IJSE_SE_EEES6_PlJS6_EEE10hipError_tPvRmT3_T4_T5_T6_T7_T9_mT8_P12ihipStream_tbDpT10_ENKUlT_T0_E_clISt17integral_constantIbLb0EES1B_EEDaS16_S17_EUlS16_E_NS1_11comp_targetILNS1_3genE0ELNS1_11target_archE4294967295ELNS1_3gpuE0ELNS1_3repE0EEENS1_30default_config_static_selectorELNS0_4arch9wavefront6targetE0EEEvT1_.has_recursion, 0
	.set _ZN7rocprim17ROCPRIM_400000_NS6detail17trampoline_kernelINS0_14default_configENS1_25partition_config_selectorILNS1_17partition_subalgoE5EiNS0_10empty_typeEbEEZZNS1_14partition_implILS5_5ELb0ES3_mN6thrust23THRUST_200600_302600_NS17counting_iteratorIiNSA_11use_defaultESC_SC_EEPS6_NSA_18transform_iteratorINSA_8identityIiEENSA_6detail15normal_iteratorINSA_10device_ptrIiEEEESC_SC_EENS0_5tupleIJSM_S6_EEENSO_IJSE_SE_EEES6_PlJS6_EEE10hipError_tPvRmT3_T4_T5_T6_T7_T9_mT8_P12ihipStream_tbDpT10_ENKUlT_T0_E_clISt17integral_constantIbLb0EES1B_EEDaS16_S17_EUlS16_E_NS1_11comp_targetILNS1_3genE0ELNS1_11target_archE4294967295ELNS1_3gpuE0ELNS1_3repE0EEENS1_30default_config_static_selectorELNS0_4arch9wavefront6targetE0EEEvT1_.has_indirect_call, 0
	.section	.AMDGPU.csdata,"",@progbits
; Kernel info:
; codeLenInByte = 0
; TotalNumSgprs: 0
; NumVgprs: 0
; ScratchSize: 0
; MemoryBound: 0
; FloatMode: 240
; IeeeMode: 1
; LDSByteSize: 0 bytes/workgroup (compile time only)
; SGPRBlocks: 0
; VGPRBlocks: 0
; NumSGPRsForWavesPerEU: 1
; NumVGPRsForWavesPerEU: 1
; Occupancy: 16
; WaveLimiterHint : 0
; COMPUTE_PGM_RSRC2:SCRATCH_EN: 0
; COMPUTE_PGM_RSRC2:USER_SGPR: 2
; COMPUTE_PGM_RSRC2:TRAP_HANDLER: 0
; COMPUTE_PGM_RSRC2:TGID_X_EN: 1
; COMPUTE_PGM_RSRC2:TGID_Y_EN: 0
; COMPUTE_PGM_RSRC2:TGID_Z_EN: 0
; COMPUTE_PGM_RSRC2:TIDIG_COMP_CNT: 0
	.section	.text._ZN7rocprim17ROCPRIM_400000_NS6detail17trampoline_kernelINS0_14default_configENS1_25partition_config_selectorILNS1_17partition_subalgoE5EiNS0_10empty_typeEbEEZZNS1_14partition_implILS5_5ELb0ES3_mN6thrust23THRUST_200600_302600_NS17counting_iteratorIiNSA_11use_defaultESC_SC_EEPS6_NSA_18transform_iteratorINSA_8identityIiEENSA_6detail15normal_iteratorINSA_10device_ptrIiEEEESC_SC_EENS0_5tupleIJSM_S6_EEENSO_IJSE_SE_EEES6_PlJS6_EEE10hipError_tPvRmT3_T4_T5_T6_T7_T9_mT8_P12ihipStream_tbDpT10_ENKUlT_T0_E_clISt17integral_constantIbLb0EES1B_EEDaS16_S17_EUlS16_E_NS1_11comp_targetILNS1_3genE5ELNS1_11target_archE942ELNS1_3gpuE9ELNS1_3repE0EEENS1_30default_config_static_selectorELNS0_4arch9wavefront6targetE0EEEvT1_,"axG",@progbits,_ZN7rocprim17ROCPRIM_400000_NS6detail17trampoline_kernelINS0_14default_configENS1_25partition_config_selectorILNS1_17partition_subalgoE5EiNS0_10empty_typeEbEEZZNS1_14partition_implILS5_5ELb0ES3_mN6thrust23THRUST_200600_302600_NS17counting_iteratorIiNSA_11use_defaultESC_SC_EEPS6_NSA_18transform_iteratorINSA_8identityIiEENSA_6detail15normal_iteratorINSA_10device_ptrIiEEEESC_SC_EENS0_5tupleIJSM_S6_EEENSO_IJSE_SE_EEES6_PlJS6_EEE10hipError_tPvRmT3_T4_T5_T6_T7_T9_mT8_P12ihipStream_tbDpT10_ENKUlT_T0_E_clISt17integral_constantIbLb0EES1B_EEDaS16_S17_EUlS16_E_NS1_11comp_targetILNS1_3genE5ELNS1_11target_archE942ELNS1_3gpuE9ELNS1_3repE0EEENS1_30default_config_static_selectorELNS0_4arch9wavefront6targetE0EEEvT1_,comdat
	.protected	_ZN7rocprim17ROCPRIM_400000_NS6detail17trampoline_kernelINS0_14default_configENS1_25partition_config_selectorILNS1_17partition_subalgoE5EiNS0_10empty_typeEbEEZZNS1_14partition_implILS5_5ELb0ES3_mN6thrust23THRUST_200600_302600_NS17counting_iteratorIiNSA_11use_defaultESC_SC_EEPS6_NSA_18transform_iteratorINSA_8identityIiEENSA_6detail15normal_iteratorINSA_10device_ptrIiEEEESC_SC_EENS0_5tupleIJSM_S6_EEENSO_IJSE_SE_EEES6_PlJS6_EEE10hipError_tPvRmT3_T4_T5_T6_T7_T9_mT8_P12ihipStream_tbDpT10_ENKUlT_T0_E_clISt17integral_constantIbLb0EES1B_EEDaS16_S17_EUlS16_E_NS1_11comp_targetILNS1_3genE5ELNS1_11target_archE942ELNS1_3gpuE9ELNS1_3repE0EEENS1_30default_config_static_selectorELNS0_4arch9wavefront6targetE0EEEvT1_ ; -- Begin function _ZN7rocprim17ROCPRIM_400000_NS6detail17trampoline_kernelINS0_14default_configENS1_25partition_config_selectorILNS1_17partition_subalgoE5EiNS0_10empty_typeEbEEZZNS1_14partition_implILS5_5ELb0ES3_mN6thrust23THRUST_200600_302600_NS17counting_iteratorIiNSA_11use_defaultESC_SC_EEPS6_NSA_18transform_iteratorINSA_8identityIiEENSA_6detail15normal_iteratorINSA_10device_ptrIiEEEESC_SC_EENS0_5tupleIJSM_S6_EEENSO_IJSE_SE_EEES6_PlJS6_EEE10hipError_tPvRmT3_T4_T5_T6_T7_T9_mT8_P12ihipStream_tbDpT10_ENKUlT_T0_E_clISt17integral_constantIbLb0EES1B_EEDaS16_S17_EUlS16_E_NS1_11comp_targetILNS1_3genE5ELNS1_11target_archE942ELNS1_3gpuE9ELNS1_3repE0EEENS1_30default_config_static_selectorELNS0_4arch9wavefront6targetE0EEEvT1_
	.globl	_ZN7rocprim17ROCPRIM_400000_NS6detail17trampoline_kernelINS0_14default_configENS1_25partition_config_selectorILNS1_17partition_subalgoE5EiNS0_10empty_typeEbEEZZNS1_14partition_implILS5_5ELb0ES3_mN6thrust23THRUST_200600_302600_NS17counting_iteratorIiNSA_11use_defaultESC_SC_EEPS6_NSA_18transform_iteratorINSA_8identityIiEENSA_6detail15normal_iteratorINSA_10device_ptrIiEEEESC_SC_EENS0_5tupleIJSM_S6_EEENSO_IJSE_SE_EEES6_PlJS6_EEE10hipError_tPvRmT3_T4_T5_T6_T7_T9_mT8_P12ihipStream_tbDpT10_ENKUlT_T0_E_clISt17integral_constantIbLb0EES1B_EEDaS16_S17_EUlS16_E_NS1_11comp_targetILNS1_3genE5ELNS1_11target_archE942ELNS1_3gpuE9ELNS1_3repE0EEENS1_30default_config_static_selectorELNS0_4arch9wavefront6targetE0EEEvT1_
	.p2align	8
	.type	_ZN7rocprim17ROCPRIM_400000_NS6detail17trampoline_kernelINS0_14default_configENS1_25partition_config_selectorILNS1_17partition_subalgoE5EiNS0_10empty_typeEbEEZZNS1_14partition_implILS5_5ELb0ES3_mN6thrust23THRUST_200600_302600_NS17counting_iteratorIiNSA_11use_defaultESC_SC_EEPS6_NSA_18transform_iteratorINSA_8identityIiEENSA_6detail15normal_iteratorINSA_10device_ptrIiEEEESC_SC_EENS0_5tupleIJSM_S6_EEENSO_IJSE_SE_EEES6_PlJS6_EEE10hipError_tPvRmT3_T4_T5_T6_T7_T9_mT8_P12ihipStream_tbDpT10_ENKUlT_T0_E_clISt17integral_constantIbLb0EES1B_EEDaS16_S17_EUlS16_E_NS1_11comp_targetILNS1_3genE5ELNS1_11target_archE942ELNS1_3gpuE9ELNS1_3repE0EEENS1_30default_config_static_selectorELNS0_4arch9wavefront6targetE0EEEvT1_,@function
_ZN7rocprim17ROCPRIM_400000_NS6detail17trampoline_kernelINS0_14default_configENS1_25partition_config_selectorILNS1_17partition_subalgoE5EiNS0_10empty_typeEbEEZZNS1_14partition_implILS5_5ELb0ES3_mN6thrust23THRUST_200600_302600_NS17counting_iteratorIiNSA_11use_defaultESC_SC_EEPS6_NSA_18transform_iteratorINSA_8identityIiEENSA_6detail15normal_iteratorINSA_10device_ptrIiEEEESC_SC_EENS0_5tupleIJSM_S6_EEENSO_IJSE_SE_EEES6_PlJS6_EEE10hipError_tPvRmT3_T4_T5_T6_T7_T9_mT8_P12ihipStream_tbDpT10_ENKUlT_T0_E_clISt17integral_constantIbLb0EES1B_EEDaS16_S17_EUlS16_E_NS1_11comp_targetILNS1_3genE5ELNS1_11target_archE942ELNS1_3gpuE9ELNS1_3repE0EEENS1_30default_config_static_selectorELNS0_4arch9wavefront6targetE0EEEvT1_: ; @_ZN7rocprim17ROCPRIM_400000_NS6detail17trampoline_kernelINS0_14default_configENS1_25partition_config_selectorILNS1_17partition_subalgoE5EiNS0_10empty_typeEbEEZZNS1_14partition_implILS5_5ELb0ES3_mN6thrust23THRUST_200600_302600_NS17counting_iteratorIiNSA_11use_defaultESC_SC_EEPS6_NSA_18transform_iteratorINSA_8identityIiEENSA_6detail15normal_iteratorINSA_10device_ptrIiEEEESC_SC_EENS0_5tupleIJSM_S6_EEENSO_IJSE_SE_EEES6_PlJS6_EEE10hipError_tPvRmT3_T4_T5_T6_T7_T9_mT8_P12ihipStream_tbDpT10_ENKUlT_T0_E_clISt17integral_constantIbLb0EES1B_EEDaS16_S17_EUlS16_E_NS1_11comp_targetILNS1_3genE5ELNS1_11target_archE942ELNS1_3gpuE9ELNS1_3repE0EEENS1_30default_config_static_selectorELNS0_4arch9wavefront6targetE0EEEvT1_
; %bb.0:
	.section	.rodata,"a",@progbits
	.p2align	6, 0x0
	.amdhsa_kernel _ZN7rocprim17ROCPRIM_400000_NS6detail17trampoline_kernelINS0_14default_configENS1_25partition_config_selectorILNS1_17partition_subalgoE5EiNS0_10empty_typeEbEEZZNS1_14partition_implILS5_5ELb0ES3_mN6thrust23THRUST_200600_302600_NS17counting_iteratorIiNSA_11use_defaultESC_SC_EEPS6_NSA_18transform_iteratorINSA_8identityIiEENSA_6detail15normal_iteratorINSA_10device_ptrIiEEEESC_SC_EENS0_5tupleIJSM_S6_EEENSO_IJSE_SE_EEES6_PlJS6_EEE10hipError_tPvRmT3_T4_T5_T6_T7_T9_mT8_P12ihipStream_tbDpT10_ENKUlT_T0_E_clISt17integral_constantIbLb0EES1B_EEDaS16_S17_EUlS16_E_NS1_11comp_targetILNS1_3genE5ELNS1_11target_archE942ELNS1_3gpuE9ELNS1_3repE0EEENS1_30default_config_static_selectorELNS0_4arch9wavefront6targetE0EEEvT1_
		.amdhsa_group_segment_fixed_size 0
		.amdhsa_private_segment_fixed_size 0
		.amdhsa_kernarg_size 120
		.amdhsa_user_sgpr_count 2
		.amdhsa_user_sgpr_dispatch_ptr 0
		.amdhsa_user_sgpr_queue_ptr 0
		.amdhsa_user_sgpr_kernarg_segment_ptr 1
		.amdhsa_user_sgpr_dispatch_id 0
		.amdhsa_user_sgpr_private_segment_size 0
		.amdhsa_wavefront_size32 1
		.amdhsa_uses_dynamic_stack 0
		.amdhsa_enable_private_segment 0
		.amdhsa_system_sgpr_workgroup_id_x 1
		.amdhsa_system_sgpr_workgroup_id_y 0
		.amdhsa_system_sgpr_workgroup_id_z 0
		.amdhsa_system_sgpr_workgroup_info 0
		.amdhsa_system_vgpr_workitem_id 0
		.amdhsa_next_free_vgpr 1
		.amdhsa_next_free_sgpr 1
		.amdhsa_reserve_vcc 0
		.amdhsa_float_round_mode_32 0
		.amdhsa_float_round_mode_16_64 0
		.amdhsa_float_denorm_mode_32 3
		.amdhsa_float_denorm_mode_16_64 3
		.amdhsa_fp16_overflow 0
		.amdhsa_workgroup_processor_mode 1
		.amdhsa_memory_ordered 1
		.amdhsa_forward_progress 1
		.amdhsa_inst_pref_size 0
		.amdhsa_round_robin_scheduling 0
		.amdhsa_exception_fp_ieee_invalid_op 0
		.amdhsa_exception_fp_denorm_src 0
		.amdhsa_exception_fp_ieee_div_zero 0
		.amdhsa_exception_fp_ieee_overflow 0
		.amdhsa_exception_fp_ieee_underflow 0
		.amdhsa_exception_fp_ieee_inexact 0
		.amdhsa_exception_int_div_zero 0
	.end_amdhsa_kernel
	.section	.text._ZN7rocprim17ROCPRIM_400000_NS6detail17trampoline_kernelINS0_14default_configENS1_25partition_config_selectorILNS1_17partition_subalgoE5EiNS0_10empty_typeEbEEZZNS1_14partition_implILS5_5ELb0ES3_mN6thrust23THRUST_200600_302600_NS17counting_iteratorIiNSA_11use_defaultESC_SC_EEPS6_NSA_18transform_iteratorINSA_8identityIiEENSA_6detail15normal_iteratorINSA_10device_ptrIiEEEESC_SC_EENS0_5tupleIJSM_S6_EEENSO_IJSE_SE_EEES6_PlJS6_EEE10hipError_tPvRmT3_T4_T5_T6_T7_T9_mT8_P12ihipStream_tbDpT10_ENKUlT_T0_E_clISt17integral_constantIbLb0EES1B_EEDaS16_S17_EUlS16_E_NS1_11comp_targetILNS1_3genE5ELNS1_11target_archE942ELNS1_3gpuE9ELNS1_3repE0EEENS1_30default_config_static_selectorELNS0_4arch9wavefront6targetE0EEEvT1_,"axG",@progbits,_ZN7rocprim17ROCPRIM_400000_NS6detail17trampoline_kernelINS0_14default_configENS1_25partition_config_selectorILNS1_17partition_subalgoE5EiNS0_10empty_typeEbEEZZNS1_14partition_implILS5_5ELb0ES3_mN6thrust23THRUST_200600_302600_NS17counting_iteratorIiNSA_11use_defaultESC_SC_EEPS6_NSA_18transform_iteratorINSA_8identityIiEENSA_6detail15normal_iteratorINSA_10device_ptrIiEEEESC_SC_EENS0_5tupleIJSM_S6_EEENSO_IJSE_SE_EEES6_PlJS6_EEE10hipError_tPvRmT3_T4_T5_T6_T7_T9_mT8_P12ihipStream_tbDpT10_ENKUlT_T0_E_clISt17integral_constantIbLb0EES1B_EEDaS16_S17_EUlS16_E_NS1_11comp_targetILNS1_3genE5ELNS1_11target_archE942ELNS1_3gpuE9ELNS1_3repE0EEENS1_30default_config_static_selectorELNS0_4arch9wavefront6targetE0EEEvT1_,comdat
.Lfunc_end3:
	.size	_ZN7rocprim17ROCPRIM_400000_NS6detail17trampoline_kernelINS0_14default_configENS1_25partition_config_selectorILNS1_17partition_subalgoE5EiNS0_10empty_typeEbEEZZNS1_14partition_implILS5_5ELb0ES3_mN6thrust23THRUST_200600_302600_NS17counting_iteratorIiNSA_11use_defaultESC_SC_EEPS6_NSA_18transform_iteratorINSA_8identityIiEENSA_6detail15normal_iteratorINSA_10device_ptrIiEEEESC_SC_EENS0_5tupleIJSM_S6_EEENSO_IJSE_SE_EEES6_PlJS6_EEE10hipError_tPvRmT3_T4_T5_T6_T7_T9_mT8_P12ihipStream_tbDpT10_ENKUlT_T0_E_clISt17integral_constantIbLb0EES1B_EEDaS16_S17_EUlS16_E_NS1_11comp_targetILNS1_3genE5ELNS1_11target_archE942ELNS1_3gpuE9ELNS1_3repE0EEENS1_30default_config_static_selectorELNS0_4arch9wavefront6targetE0EEEvT1_, .Lfunc_end3-_ZN7rocprim17ROCPRIM_400000_NS6detail17trampoline_kernelINS0_14default_configENS1_25partition_config_selectorILNS1_17partition_subalgoE5EiNS0_10empty_typeEbEEZZNS1_14partition_implILS5_5ELb0ES3_mN6thrust23THRUST_200600_302600_NS17counting_iteratorIiNSA_11use_defaultESC_SC_EEPS6_NSA_18transform_iteratorINSA_8identityIiEENSA_6detail15normal_iteratorINSA_10device_ptrIiEEEESC_SC_EENS0_5tupleIJSM_S6_EEENSO_IJSE_SE_EEES6_PlJS6_EEE10hipError_tPvRmT3_T4_T5_T6_T7_T9_mT8_P12ihipStream_tbDpT10_ENKUlT_T0_E_clISt17integral_constantIbLb0EES1B_EEDaS16_S17_EUlS16_E_NS1_11comp_targetILNS1_3genE5ELNS1_11target_archE942ELNS1_3gpuE9ELNS1_3repE0EEENS1_30default_config_static_selectorELNS0_4arch9wavefront6targetE0EEEvT1_
                                        ; -- End function
	.set _ZN7rocprim17ROCPRIM_400000_NS6detail17trampoline_kernelINS0_14default_configENS1_25partition_config_selectorILNS1_17partition_subalgoE5EiNS0_10empty_typeEbEEZZNS1_14partition_implILS5_5ELb0ES3_mN6thrust23THRUST_200600_302600_NS17counting_iteratorIiNSA_11use_defaultESC_SC_EEPS6_NSA_18transform_iteratorINSA_8identityIiEENSA_6detail15normal_iteratorINSA_10device_ptrIiEEEESC_SC_EENS0_5tupleIJSM_S6_EEENSO_IJSE_SE_EEES6_PlJS6_EEE10hipError_tPvRmT3_T4_T5_T6_T7_T9_mT8_P12ihipStream_tbDpT10_ENKUlT_T0_E_clISt17integral_constantIbLb0EES1B_EEDaS16_S17_EUlS16_E_NS1_11comp_targetILNS1_3genE5ELNS1_11target_archE942ELNS1_3gpuE9ELNS1_3repE0EEENS1_30default_config_static_selectorELNS0_4arch9wavefront6targetE0EEEvT1_.num_vgpr, 0
	.set _ZN7rocprim17ROCPRIM_400000_NS6detail17trampoline_kernelINS0_14default_configENS1_25partition_config_selectorILNS1_17partition_subalgoE5EiNS0_10empty_typeEbEEZZNS1_14partition_implILS5_5ELb0ES3_mN6thrust23THRUST_200600_302600_NS17counting_iteratorIiNSA_11use_defaultESC_SC_EEPS6_NSA_18transform_iteratorINSA_8identityIiEENSA_6detail15normal_iteratorINSA_10device_ptrIiEEEESC_SC_EENS0_5tupleIJSM_S6_EEENSO_IJSE_SE_EEES6_PlJS6_EEE10hipError_tPvRmT3_T4_T5_T6_T7_T9_mT8_P12ihipStream_tbDpT10_ENKUlT_T0_E_clISt17integral_constantIbLb0EES1B_EEDaS16_S17_EUlS16_E_NS1_11comp_targetILNS1_3genE5ELNS1_11target_archE942ELNS1_3gpuE9ELNS1_3repE0EEENS1_30default_config_static_selectorELNS0_4arch9wavefront6targetE0EEEvT1_.num_agpr, 0
	.set _ZN7rocprim17ROCPRIM_400000_NS6detail17trampoline_kernelINS0_14default_configENS1_25partition_config_selectorILNS1_17partition_subalgoE5EiNS0_10empty_typeEbEEZZNS1_14partition_implILS5_5ELb0ES3_mN6thrust23THRUST_200600_302600_NS17counting_iteratorIiNSA_11use_defaultESC_SC_EEPS6_NSA_18transform_iteratorINSA_8identityIiEENSA_6detail15normal_iteratorINSA_10device_ptrIiEEEESC_SC_EENS0_5tupleIJSM_S6_EEENSO_IJSE_SE_EEES6_PlJS6_EEE10hipError_tPvRmT3_T4_T5_T6_T7_T9_mT8_P12ihipStream_tbDpT10_ENKUlT_T0_E_clISt17integral_constantIbLb0EES1B_EEDaS16_S17_EUlS16_E_NS1_11comp_targetILNS1_3genE5ELNS1_11target_archE942ELNS1_3gpuE9ELNS1_3repE0EEENS1_30default_config_static_selectorELNS0_4arch9wavefront6targetE0EEEvT1_.numbered_sgpr, 0
	.set _ZN7rocprim17ROCPRIM_400000_NS6detail17trampoline_kernelINS0_14default_configENS1_25partition_config_selectorILNS1_17partition_subalgoE5EiNS0_10empty_typeEbEEZZNS1_14partition_implILS5_5ELb0ES3_mN6thrust23THRUST_200600_302600_NS17counting_iteratorIiNSA_11use_defaultESC_SC_EEPS6_NSA_18transform_iteratorINSA_8identityIiEENSA_6detail15normal_iteratorINSA_10device_ptrIiEEEESC_SC_EENS0_5tupleIJSM_S6_EEENSO_IJSE_SE_EEES6_PlJS6_EEE10hipError_tPvRmT3_T4_T5_T6_T7_T9_mT8_P12ihipStream_tbDpT10_ENKUlT_T0_E_clISt17integral_constantIbLb0EES1B_EEDaS16_S17_EUlS16_E_NS1_11comp_targetILNS1_3genE5ELNS1_11target_archE942ELNS1_3gpuE9ELNS1_3repE0EEENS1_30default_config_static_selectorELNS0_4arch9wavefront6targetE0EEEvT1_.num_named_barrier, 0
	.set _ZN7rocprim17ROCPRIM_400000_NS6detail17trampoline_kernelINS0_14default_configENS1_25partition_config_selectorILNS1_17partition_subalgoE5EiNS0_10empty_typeEbEEZZNS1_14partition_implILS5_5ELb0ES3_mN6thrust23THRUST_200600_302600_NS17counting_iteratorIiNSA_11use_defaultESC_SC_EEPS6_NSA_18transform_iteratorINSA_8identityIiEENSA_6detail15normal_iteratorINSA_10device_ptrIiEEEESC_SC_EENS0_5tupleIJSM_S6_EEENSO_IJSE_SE_EEES6_PlJS6_EEE10hipError_tPvRmT3_T4_T5_T6_T7_T9_mT8_P12ihipStream_tbDpT10_ENKUlT_T0_E_clISt17integral_constantIbLb0EES1B_EEDaS16_S17_EUlS16_E_NS1_11comp_targetILNS1_3genE5ELNS1_11target_archE942ELNS1_3gpuE9ELNS1_3repE0EEENS1_30default_config_static_selectorELNS0_4arch9wavefront6targetE0EEEvT1_.private_seg_size, 0
	.set _ZN7rocprim17ROCPRIM_400000_NS6detail17trampoline_kernelINS0_14default_configENS1_25partition_config_selectorILNS1_17partition_subalgoE5EiNS0_10empty_typeEbEEZZNS1_14partition_implILS5_5ELb0ES3_mN6thrust23THRUST_200600_302600_NS17counting_iteratorIiNSA_11use_defaultESC_SC_EEPS6_NSA_18transform_iteratorINSA_8identityIiEENSA_6detail15normal_iteratorINSA_10device_ptrIiEEEESC_SC_EENS0_5tupleIJSM_S6_EEENSO_IJSE_SE_EEES6_PlJS6_EEE10hipError_tPvRmT3_T4_T5_T6_T7_T9_mT8_P12ihipStream_tbDpT10_ENKUlT_T0_E_clISt17integral_constantIbLb0EES1B_EEDaS16_S17_EUlS16_E_NS1_11comp_targetILNS1_3genE5ELNS1_11target_archE942ELNS1_3gpuE9ELNS1_3repE0EEENS1_30default_config_static_selectorELNS0_4arch9wavefront6targetE0EEEvT1_.uses_vcc, 0
	.set _ZN7rocprim17ROCPRIM_400000_NS6detail17trampoline_kernelINS0_14default_configENS1_25partition_config_selectorILNS1_17partition_subalgoE5EiNS0_10empty_typeEbEEZZNS1_14partition_implILS5_5ELb0ES3_mN6thrust23THRUST_200600_302600_NS17counting_iteratorIiNSA_11use_defaultESC_SC_EEPS6_NSA_18transform_iteratorINSA_8identityIiEENSA_6detail15normal_iteratorINSA_10device_ptrIiEEEESC_SC_EENS0_5tupleIJSM_S6_EEENSO_IJSE_SE_EEES6_PlJS6_EEE10hipError_tPvRmT3_T4_T5_T6_T7_T9_mT8_P12ihipStream_tbDpT10_ENKUlT_T0_E_clISt17integral_constantIbLb0EES1B_EEDaS16_S17_EUlS16_E_NS1_11comp_targetILNS1_3genE5ELNS1_11target_archE942ELNS1_3gpuE9ELNS1_3repE0EEENS1_30default_config_static_selectorELNS0_4arch9wavefront6targetE0EEEvT1_.uses_flat_scratch, 0
	.set _ZN7rocprim17ROCPRIM_400000_NS6detail17trampoline_kernelINS0_14default_configENS1_25partition_config_selectorILNS1_17partition_subalgoE5EiNS0_10empty_typeEbEEZZNS1_14partition_implILS5_5ELb0ES3_mN6thrust23THRUST_200600_302600_NS17counting_iteratorIiNSA_11use_defaultESC_SC_EEPS6_NSA_18transform_iteratorINSA_8identityIiEENSA_6detail15normal_iteratorINSA_10device_ptrIiEEEESC_SC_EENS0_5tupleIJSM_S6_EEENSO_IJSE_SE_EEES6_PlJS6_EEE10hipError_tPvRmT3_T4_T5_T6_T7_T9_mT8_P12ihipStream_tbDpT10_ENKUlT_T0_E_clISt17integral_constantIbLb0EES1B_EEDaS16_S17_EUlS16_E_NS1_11comp_targetILNS1_3genE5ELNS1_11target_archE942ELNS1_3gpuE9ELNS1_3repE0EEENS1_30default_config_static_selectorELNS0_4arch9wavefront6targetE0EEEvT1_.has_dyn_sized_stack, 0
	.set _ZN7rocprim17ROCPRIM_400000_NS6detail17trampoline_kernelINS0_14default_configENS1_25partition_config_selectorILNS1_17partition_subalgoE5EiNS0_10empty_typeEbEEZZNS1_14partition_implILS5_5ELb0ES3_mN6thrust23THRUST_200600_302600_NS17counting_iteratorIiNSA_11use_defaultESC_SC_EEPS6_NSA_18transform_iteratorINSA_8identityIiEENSA_6detail15normal_iteratorINSA_10device_ptrIiEEEESC_SC_EENS0_5tupleIJSM_S6_EEENSO_IJSE_SE_EEES6_PlJS6_EEE10hipError_tPvRmT3_T4_T5_T6_T7_T9_mT8_P12ihipStream_tbDpT10_ENKUlT_T0_E_clISt17integral_constantIbLb0EES1B_EEDaS16_S17_EUlS16_E_NS1_11comp_targetILNS1_3genE5ELNS1_11target_archE942ELNS1_3gpuE9ELNS1_3repE0EEENS1_30default_config_static_selectorELNS0_4arch9wavefront6targetE0EEEvT1_.has_recursion, 0
	.set _ZN7rocprim17ROCPRIM_400000_NS6detail17trampoline_kernelINS0_14default_configENS1_25partition_config_selectorILNS1_17partition_subalgoE5EiNS0_10empty_typeEbEEZZNS1_14partition_implILS5_5ELb0ES3_mN6thrust23THRUST_200600_302600_NS17counting_iteratorIiNSA_11use_defaultESC_SC_EEPS6_NSA_18transform_iteratorINSA_8identityIiEENSA_6detail15normal_iteratorINSA_10device_ptrIiEEEESC_SC_EENS0_5tupleIJSM_S6_EEENSO_IJSE_SE_EEES6_PlJS6_EEE10hipError_tPvRmT3_T4_T5_T6_T7_T9_mT8_P12ihipStream_tbDpT10_ENKUlT_T0_E_clISt17integral_constantIbLb0EES1B_EEDaS16_S17_EUlS16_E_NS1_11comp_targetILNS1_3genE5ELNS1_11target_archE942ELNS1_3gpuE9ELNS1_3repE0EEENS1_30default_config_static_selectorELNS0_4arch9wavefront6targetE0EEEvT1_.has_indirect_call, 0
	.section	.AMDGPU.csdata,"",@progbits
; Kernel info:
; codeLenInByte = 0
; TotalNumSgprs: 0
; NumVgprs: 0
; ScratchSize: 0
; MemoryBound: 0
; FloatMode: 240
; IeeeMode: 1
; LDSByteSize: 0 bytes/workgroup (compile time only)
; SGPRBlocks: 0
; VGPRBlocks: 0
; NumSGPRsForWavesPerEU: 1
; NumVGPRsForWavesPerEU: 1
; Occupancy: 16
; WaveLimiterHint : 0
; COMPUTE_PGM_RSRC2:SCRATCH_EN: 0
; COMPUTE_PGM_RSRC2:USER_SGPR: 2
; COMPUTE_PGM_RSRC2:TRAP_HANDLER: 0
; COMPUTE_PGM_RSRC2:TGID_X_EN: 1
; COMPUTE_PGM_RSRC2:TGID_Y_EN: 0
; COMPUTE_PGM_RSRC2:TGID_Z_EN: 0
; COMPUTE_PGM_RSRC2:TIDIG_COMP_CNT: 0
	.section	.text._ZN7rocprim17ROCPRIM_400000_NS6detail17trampoline_kernelINS0_14default_configENS1_25partition_config_selectorILNS1_17partition_subalgoE5EiNS0_10empty_typeEbEEZZNS1_14partition_implILS5_5ELb0ES3_mN6thrust23THRUST_200600_302600_NS17counting_iteratorIiNSA_11use_defaultESC_SC_EEPS6_NSA_18transform_iteratorINSA_8identityIiEENSA_6detail15normal_iteratorINSA_10device_ptrIiEEEESC_SC_EENS0_5tupleIJSM_S6_EEENSO_IJSE_SE_EEES6_PlJS6_EEE10hipError_tPvRmT3_T4_T5_T6_T7_T9_mT8_P12ihipStream_tbDpT10_ENKUlT_T0_E_clISt17integral_constantIbLb0EES1B_EEDaS16_S17_EUlS16_E_NS1_11comp_targetILNS1_3genE4ELNS1_11target_archE910ELNS1_3gpuE8ELNS1_3repE0EEENS1_30default_config_static_selectorELNS0_4arch9wavefront6targetE0EEEvT1_,"axG",@progbits,_ZN7rocprim17ROCPRIM_400000_NS6detail17trampoline_kernelINS0_14default_configENS1_25partition_config_selectorILNS1_17partition_subalgoE5EiNS0_10empty_typeEbEEZZNS1_14partition_implILS5_5ELb0ES3_mN6thrust23THRUST_200600_302600_NS17counting_iteratorIiNSA_11use_defaultESC_SC_EEPS6_NSA_18transform_iteratorINSA_8identityIiEENSA_6detail15normal_iteratorINSA_10device_ptrIiEEEESC_SC_EENS0_5tupleIJSM_S6_EEENSO_IJSE_SE_EEES6_PlJS6_EEE10hipError_tPvRmT3_T4_T5_T6_T7_T9_mT8_P12ihipStream_tbDpT10_ENKUlT_T0_E_clISt17integral_constantIbLb0EES1B_EEDaS16_S17_EUlS16_E_NS1_11comp_targetILNS1_3genE4ELNS1_11target_archE910ELNS1_3gpuE8ELNS1_3repE0EEENS1_30default_config_static_selectorELNS0_4arch9wavefront6targetE0EEEvT1_,comdat
	.protected	_ZN7rocprim17ROCPRIM_400000_NS6detail17trampoline_kernelINS0_14default_configENS1_25partition_config_selectorILNS1_17partition_subalgoE5EiNS0_10empty_typeEbEEZZNS1_14partition_implILS5_5ELb0ES3_mN6thrust23THRUST_200600_302600_NS17counting_iteratorIiNSA_11use_defaultESC_SC_EEPS6_NSA_18transform_iteratorINSA_8identityIiEENSA_6detail15normal_iteratorINSA_10device_ptrIiEEEESC_SC_EENS0_5tupleIJSM_S6_EEENSO_IJSE_SE_EEES6_PlJS6_EEE10hipError_tPvRmT3_T4_T5_T6_T7_T9_mT8_P12ihipStream_tbDpT10_ENKUlT_T0_E_clISt17integral_constantIbLb0EES1B_EEDaS16_S17_EUlS16_E_NS1_11comp_targetILNS1_3genE4ELNS1_11target_archE910ELNS1_3gpuE8ELNS1_3repE0EEENS1_30default_config_static_selectorELNS0_4arch9wavefront6targetE0EEEvT1_ ; -- Begin function _ZN7rocprim17ROCPRIM_400000_NS6detail17trampoline_kernelINS0_14default_configENS1_25partition_config_selectorILNS1_17partition_subalgoE5EiNS0_10empty_typeEbEEZZNS1_14partition_implILS5_5ELb0ES3_mN6thrust23THRUST_200600_302600_NS17counting_iteratorIiNSA_11use_defaultESC_SC_EEPS6_NSA_18transform_iteratorINSA_8identityIiEENSA_6detail15normal_iteratorINSA_10device_ptrIiEEEESC_SC_EENS0_5tupleIJSM_S6_EEENSO_IJSE_SE_EEES6_PlJS6_EEE10hipError_tPvRmT3_T4_T5_T6_T7_T9_mT8_P12ihipStream_tbDpT10_ENKUlT_T0_E_clISt17integral_constantIbLb0EES1B_EEDaS16_S17_EUlS16_E_NS1_11comp_targetILNS1_3genE4ELNS1_11target_archE910ELNS1_3gpuE8ELNS1_3repE0EEENS1_30default_config_static_selectorELNS0_4arch9wavefront6targetE0EEEvT1_
	.globl	_ZN7rocprim17ROCPRIM_400000_NS6detail17trampoline_kernelINS0_14default_configENS1_25partition_config_selectorILNS1_17partition_subalgoE5EiNS0_10empty_typeEbEEZZNS1_14partition_implILS5_5ELb0ES3_mN6thrust23THRUST_200600_302600_NS17counting_iteratorIiNSA_11use_defaultESC_SC_EEPS6_NSA_18transform_iteratorINSA_8identityIiEENSA_6detail15normal_iteratorINSA_10device_ptrIiEEEESC_SC_EENS0_5tupleIJSM_S6_EEENSO_IJSE_SE_EEES6_PlJS6_EEE10hipError_tPvRmT3_T4_T5_T6_T7_T9_mT8_P12ihipStream_tbDpT10_ENKUlT_T0_E_clISt17integral_constantIbLb0EES1B_EEDaS16_S17_EUlS16_E_NS1_11comp_targetILNS1_3genE4ELNS1_11target_archE910ELNS1_3gpuE8ELNS1_3repE0EEENS1_30default_config_static_selectorELNS0_4arch9wavefront6targetE0EEEvT1_
	.p2align	8
	.type	_ZN7rocprim17ROCPRIM_400000_NS6detail17trampoline_kernelINS0_14default_configENS1_25partition_config_selectorILNS1_17partition_subalgoE5EiNS0_10empty_typeEbEEZZNS1_14partition_implILS5_5ELb0ES3_mN6thrust23THRUST_200600_302600_NS17counting_iteratorIiNSA_11use_defaultESC_SC_EEPS6_NSA_18transform_iteratorINSA_8identityIiEENSA_6detail15normal_iteratorINSA_10device_ptrIiEEEESC_SC_EENS0_5tupleIJSM_S6_EEENSO_IJSE_SE_EEES6_PlJS6_EEE10hipError_tPvRmT3_T4_T5_T6_T7_T9_mT8_P12ihipStream_tbDpT10_ENKUlT_T0_E_clISt17integral_constantIbLb0EES1B_EEDaS16_S17_EUlS16_E_NS1_11comp_targetILNS1_3genE4ELNS1_11target_archE910ELNS1_3gpuE8ELNS1_3repE0EEENS1_30default_config_static_selectorELNS0_4arch9wavefront6targetE0EEEvT1_,@function
_ZN7rocprim17ROCPRIM_400000_NS6detail17trampoline_kernelINS0_14default_configENS1_25partition_config_selectorILNS1_17partition_subalgoE5EiNS0_10empty_typeEbEEZZNS1_14partition_implILS5_5ELb0ES3_mN6thrust23THRUST_200600_302600_NS17counting_iteratorIiNSA_11use_defaultESC_SC_EEPS6_NSA_18transform_iteratorINSA_8identityIiEENSA_6detail15normal_iteratorINSA_10device_ptrIiEEEESC_SC_EENS0_5tupleIJSM_S6_EEENSO_IJSE_SE_EEES6_PlJS6_EEE10hipError_tPvRmT3_T4_T5_T6_T7_T9_mT8_P12ihipStream_tbDpT10_ENKUlT_T0_E_clISt17integral_constantIbLb0EES1B_EEDaS16_S17_EUlS16_E_NS1_11comp_targetILNS1_3genE4ELNS1_11target_archE910ELNS1_3gpuE8ELNS1_3repE0EEENS1_30default_config_static_selectorELNS0_4arch9wavefront6targetE0EEEvT1_: ; @_ZN7rocprim17ROCPRIM_400000_NS6detail17trampoline_kernelINS0_14default_configENS1_25partition_config_selectorILNS1_17partition_subalgoE5EiNS0_10empty_typeEbEEZZNS1_14partition_implILS5_5ELb0ES3_mN6thrust23THRUST_200600_302600_NS17counting_iteratorIiNSA_11use_defaultESC_SC_EEPS6_NSA_18transform_iteratorINSA_8identityIiEENSA_6detail15normal_iteratorINSA_10device_ptrIiEEEESC_SC_EENS0_5tupleIJSM_S6_EEENSO_IJSE_SE_EEES6_PlJS6_EEE10hipError_tPvRmT3_T4_T5_T6_T7_T9_mT8_P12ihipStream_tbDpT10_ENKUlT_T0_E_clISt17integral_constantIbLb0EES1B_EEDaS16_S17_EUlS16_E_NS1_11comp_targetILNS1_3genE4ELNS1_11target_archE910ELNS1_3gpuE8ELNS1_3repE0EEENS1_30default_config_static_selectorELNS0_4arch9wavefront6targetE0EEEvT1_
; %bb.0:
	.section	.rodata,"a",@progbits
	.p2align	6, 0x0
	.amdhsa_kernel _ZN7rocprim17ROCPRIM_400000_NS6detail17trampoline_kernelINS0_14default_configENS1_25partition_config_selectorILNS1_17partition_subalgoE5EiNS0_10empty_typeEbEEZZNS1_14partition_implILS5_5ELb0ES3_mN6thrust23THRUST_200600_302600_NS17counting_iteratorIiNSA_11use_defaultESC_SC_EEPS6_NSA_18transform_iteratorINSA_8identityIiEENSA_6detail15normal_iteratorINSA_10device_ptrIiEEEESC_SC_EENS0_5tupleIJSM_S6_EEENSO_IJSE_SE_EEES6_PlJS6_EEE10hipError_tPvRmT3_T4_T5_T6_T7_T9_mT8_P12ihipStream_tbDpT10_ENKUlT_T0_E_clISt17integral_constantIbLb0EES1B_EEDaS16_S17_EUlS16_E_NS1_11comp_targetILNS1_3genE4ELNS1_11target_archE910ELNS1_3gpuE8ELNS1_3repE0EEENS1_30default_config_static_selectorELNS0_4arch9wavefront6targetE0EEEvT1_
		.amdhsa_group_segment_fixed_size 0
		.amdhsa_private_segment_fixed_size 0
		.amdhsa_kernarg_size 120
		.amdhsa_user_sgpr_count 2
		.amdhsa_user_sgpr_dispatch_ptr 0
		.amdhsa_user_sgpr_queue_ptr 0
		.amdhsa_user_sgpr_kernarg_segment_ptr 1
		.amdhsa_user_sgpr_dispatch_id 0
		.amdhsa_user_sgpr_private_segment_size 0
		.amdhsa_wavefront_size32 1
		.amdhsa_uses_dynamic_stack 0
		.amdhsa_enable_private_segment 0
		.amdhsa_system_sgpr_workgroup_id_x 1
		.amdhsa_system_sgpr_workgroup_id_y 0
		.amdhsa_system_sgpr_workgroup_id_z 0
		.amdhsa_system_sgpr_workgroup_info 0
		.amdhsa_system_vgpr_workitem_id 0
		.amdhsa_next_free_vgpr 1
		.amdhsa_next_free_sgpr 1
		.amdhsa_reserve_vcc 0
		.amdhsa_float_round_mode_32 0
		.amdhsa_float_round_mode_16_64 0
		.amdhsa_float_denorm_mode_32 3
		.amdhsa_float_denorm_mode_16_64 3
		.amdhsa_fp16_overflow 0
		.amdhsa_workgroup_processor_mode 1
		.amdhsa_memory_ordered 1
		.amdhsa_forward_progress 1
		.amdhsa_inst_pref_size 0
		.amdhsa_round_robin_scheduling 0
		.amdhsa_exception_fp_ieee_invalid_op 0
		.amdhsa_exception_fp_denorm_src 0
		.amdhsa_exception_fp_ieee_div_zero 0
		.amdhsa_exception_fp_ieee_overflow 0
		.amdhsa_exception_fp_ieee_underflow 0
		.amdhsa_exception_fp_ieee_inexact 0
		.amdhsa_exception_int_div_zero 0
	.end_amdhsa_kernel
	.section	.text._ZN7rocprim17ROCPRIM_400000_NS6detail17trampoline_kernelINS0_14default_configENS1_25partition_config_selectorILNS1_17partition_subalgoE5EiNS0_10empty_typeEbEEZZNS1_14partition_implILS5_5ELb0ES3_mN6thrust23THRUST_200600_302600_NS17counting_iteratorIiNSA_11use_defaultESC_SC_EEPS6_NSA_18transform_iteratorINSA_8identityIiEENSA_6detail15normal_iteratorINSA_10device_ptrIiEEEESC_SC_EENS0_5tupleIJSM_S6_EEENSO_IJSE_SE_EEES6_PlJS6_EEE10hipError_tPvRmT3_T4_T5_T6_T7_T9_mT8_P12ihipStream_tbDpT10_ENKUlT_T0_E_clISt17integral_constantIbLb0EES1B_EEDaS16_S17_EUlS16_E_NS1_11comp_targetILNS1_3genE4ELNS1_11target_archE910ELNS1_3gpuE8ELNS1_3repE0EEENS1_30default_config_static_selectorELNS0_4arch9wavefront6targetE0EEEvT1_,"axG",@progbits,_ZN7rocprim17ROCPRIM_400000_NS6detail17trampoline_kernelINS0_14default_configENS1_25partition_config_selectorILNS1_17partition_subalgoE5EiNS0_10empty_typeEbEEZZNS1_14partition_implILS5_5ELb0ES3_mN6thrust23THRUST_200600_302600_NS17counting_iteratorIiNSA_11use_defaultESC_SC_EEPS6_NSA_18transform_iteratorINSA_8identityIiEENSA_6detail15normal_iteratorINSA_10device_ptrIiEEEESC_SC_EENS0_5tupleIJSM_S6_EEENSO_IJSE_SE_EEES6_PlJS6_EEE10hipError_tPvRmT3_T4_T5_T6_T7_T9_mT8_P12ihipStream_tbDpT10_ENKUlT_T0_E_clISt17integral_constantIbLb0EES1B_EEDaS16_S17_EUlS16_E_NS1_11comp_targetILNS1_3genE4ELNS1_11target_archE910ELNS1_3gpuE8ELNS1_3repE0EEENS1_30default_config_static_selectorELNS0_4arch9wavefront6targetE0EEEvT1_,comdat
.Lfunc_end4:
	.size	_ZN7rocprim17ROCPRIM_400000_NS6detail17trampoline_kernelINS0_14default_configENS1_25partition_config_selectorILNS1_17partition_subalgoE5EiNS0_10empty_typeEbEEZZNS1_14partition_implILS5_5ELb0ES3_mN6thrust23THRUST_200600_302600_NS17counting_iteratorIiNSA_11use_defaultESC_SC_EEPS6_NSA_18transform_iteratorINSA_8identityIiEENSA_6detail15normal_iteratorINSA_10device_ptrIiEEEESC_SC_EENS0_5tupleIJSM_S6_EEENSO_IJSE_SE_EEES6_PlJS6_EEE10hipError_tPvRmT3_T4_T5_T6_T7_T9_mT8_P12ihipStream_tbDpT10_ENKUlT_T0_E_clISt17integral_constantIbLb0EES1B_EEDaS16_S17_EUlS16_E_NS1_11comp_targetILNS1_3genE4ELNS1_11target_archE910ELNS1_3gpuE8ELNS1_3repE0EEENS1_30default_config_static_selectorELNS0_4arch9wavefront6targetE0EEEvT1_, .Lfunc_end4-_ZN7rocprim17ROCPRIM_400000_NS6detail17trampoline_kernelINS0_14default_configENS1_25partition_config_selectorILNS1_17partition_subalgoE5EiNS0_10empty_typeEbEEZZNS1_14partition_implILS5_5ELb0ES3_mN6thrust23THRUST_200600_302600_NS17counting_iteratorIiNSA_11use_defaultESC_SC_EEPS6_NSA_18transform_iteratorINSA_8identityIiEENSA_6detail15normal_iteratorINSA_10device_ptrIiEEEESC_SC_EENS0_5tupleIJSM_S6_EEENSO_IJSE_SE_EEES6_PlJS6_EEE10hipError_tPvRmT3_T4_T5_T6_T7_T9_mT8_P12ihipStream_tbDpT10_ENKUlT_T0_E_clISt17integral_constantIbLb0EES1B_EEDaS16_S17_EUlS16_E_NS1_11comp_targetILNS1_3genE4ELNS1_11target_archE910ELNS1_3gpuE8ELNS1_3repE0EEENS1_30default_config_static_selectorELNS0_4arch9wavefront6targetE0EEEvT1_
                                        ; -- End function
	.set _ZN7rocprim17ROCPRIM_400000_NS6detail17trampoline_kernelINS0_14default_configENS1_25partition_config_selectorILNS1_17partition_subalgoE5EiNS0_10empty_typeEbEEZZNS1_14partition_implILS5_5ELb0ES3_mN6thrust23THRUST_200600_302600_NS17counting_iteratorIiNSA_11use_defaultESC_SC_EEPS6_NSA_18transform_iteratorINSA_8identityIiEENSA_6detail15normal_iteratorINSA_10device_ptrIiEEEESC_SC_EENS0_5tupleIJSM_S6_EEENSO_IJSE_SE_EEES6_PlJS6_EEE10hipError_tPvRmT3_T4_T5_T6_T7_T9_mT8_P12ihipStream_tbDpT10_ENKUlT_T0_E_clISt17integral_constantIbLb0EES1B_EEDaS16_S17_EUlS16_E_NS1_11comp_targetILNS1_3genE4ELNS1_11target_archE910ELNS1_3gpuE8ELNS1_3repE0EEENS1_30default_config_static_selectorELNS0_4arch9wavefront6targetE0EEEvT1_.num_vgpr, 0
	.set _ZN7rocprim17ROCPRIM_400000_NS6detail17trampoline_kernelINS0_14default_configENS1_25partition_config_selectorILNS1_17partition_subalgoE5EiNS0_10empty_typeEbEEZZNS1_14partition_implILS5_5ELb0ES3_mN6thrust23THRUST_200600_302600_NS17counting_iteratorIiNSA_11use_defaultESC_SC_EEPS6_NSA_18transform_iteratorINSA_8identityIiEENSA_6detail15normal_iteratorINSA_10device_ptrIiEEEESC_SC_EENS0_5tupleIJSM_S6_EEENSO_IJSE_SE_EEES6_PlJS6_EEE10hipError_tPvRmT3_T4_T5_T6_T7_T9_mT8_P12ihipStream_tbDpT10_ENKUlT_T0_E_clISt17integral_constantIbLb0EES1B_EEDaS16_S17_EUlS16_E_NS1_11comp_targetILNS1_3genE4ELNS1_11target_archE910ELNS1_3gpuE8ELNS1_3repE0EEENS1_30default_config_static_selectorELNS0_4arch9wavefront6targetE0EEEvT1_.num_agpr, 0
	.set _ZN7rocprim17ROCPRIM_400000_NS6detail17trampoline_kernelINS0_14default_configENS1_25partition_config_selectorILNS1_17partition_subalgoE5EiNS0_10empty_typeEbEEZZNS1_14partition_implILS5_5ELb0ES3_mN6thrust23THRUST_200600_302600_NS17counting_iteratorIiNSA_11use_defaultESC_SC_EEPS6_NSA_18transform_iteratorINSA_8identityIiEENSA_6detail15normal_iteratorINSA_10device_ptrIiEEEESC_SC_EENS0_5tupleIJSM_S6_EEENSO_IJSE_SE_EEES6_PlJS6_EEE10hipError_tPvRmT3_T4_T5_T6_T7_T9_mT8_P12ihipStream_tbDpT10_ENKUlT_T0_E_clISt17integral_constantIbLb0EES1B_EEDaS16_S17_EUlS16_E_NS1_11comp_targetILNS1_3genE4ELNS1_11target_archE910ELNS1_3gpuE8ELNS1_3repE0EEENS1_30default_config_static_selectorELNS0_4arch9wavefront6targetE0EEEvT1_.numbered_sgpr, 0
	.set _ZN7rocprim17ROCPRIM_400000_NS6detail17trampoline_kernelINS0_14default_configENS1_25partition_config_selectorILNS1_17partition_subalgoE5EiNS0_10empty_typeEbEEZZNS1_14partition_implILS5_5ELb0ES3_mN6thrust23THRUST_200600_302600_NS17counting_iteratorIiNSA_11use_defaultESC_SC_EEPS6_NSA_18transform_iteratorINSA_8identityIiEENSA_6detail15normal_iteratorINSA_10device_ptrIiEEEESC_SC_EENS0_5tupleIJSM_S6_EEENSO_IJSE_SE_EEES6_PlJS6_EEE10hipError_tPvRmT3_T4_T5_T6_T7_T9_mT8_P12ihipStream_tbDpT10_ENKUlT_T0_E_clISt17integral_constantIbLb0EES1B_EEDaS16_S17_EUlS16_E_NS1_11comp_targetILNS1_3genE4ELNS1_11target_archE910ELNS1_3gpuE8ELNS1_3repE0EEENS1_30default_config_static_selectorELNS0_4arch9wavefront6targetE0EEEvT1_.num_named_barrier, 0
	.set _ZN7rocprim17ROCPRIM_400000_NS6detail17trampoline_kernelINS0_14default_configENS1_25partition_config_selectorILNS1_17partition_subalgoE5EiNS0_10empty_typeEbEEZZNS1_14partition_implILS5_5ELb0ES3_mN6thrust23THRUST_200600_302600_NS17counting_iteratorIiNSA_11use_defaultESC_SC_EEPS6_NSA_18transform_iteratorINSA_8identityIiEENSA_6detail15normal_iteratorINSA_10device_ptrIiEEEESC_SC_EENS0_5tupleIJSM_S6_EEENSO_IJSE_SE_EEES6_PlJS6_EEE10hipError_tPvRmT3_T4_T5_T6_T7_T9_mT8_P12ihipStream_tbDpT10_ENKUlT_T0_E_clISt17integral_constantIbLb0EES1B_EEDaS16_S17_EUlS16_E_NS1_11comp_targetILNS1_3genE4ELNS1_11target_archE910ELNS1_3gpuE8ELNS1_3repE0EEENS1_30default_config_static_selectorELNS0_4arch9wavefront6targetE0EEEvT1_.private_seg_size, 0
	.set _ZN7rocprim17ROCPRIM_400000_NS6detail17trampoline_kernelINS0_14default_configENS1_25partition_config_selectorILNS1_17partition_subalgoE5EiNS0_10empty_typeEbEEZZNS1_14partition_implILS5_5ELb0ES3_mN6thrust23THRUST_200600_302600_NS17counting_iteratorIiNSA_11use_defaultESC_SC_EEPS6_NSA_18transform_iteratorINSA_8identityIiEENSA_6detail15normal_iteratorINSA_10device_ptrIiEEEESC_SC_EENS0_5tupleIJSM_S6_EEENSO_IJSE_SE_EEES6_PlJS6_EEE10hipError_tPvRmT3_T4_T5_T6_T7_T9_mT8_P12ihipStream_tbDpT10_ENKUlT_T0_E_clISt17integral_constantIbLb0EES1B_EEDaS16_S17_EUlS16_E_NS1_11comp_targetILNS1_3genE4ELNS1_11target_archE910ELNS1_3gpuE8ELNS1_3repE0EEENS1_30default_config_static_selectorELNS0_4arch9wavefront6targetE0EEEvT1_.uses_vcc, 0
	.set _ZN7rocprim17ROCPRIM_400000_NS6detail17trampoline_kernelINS0_14default_configENS1_25partition_config_selectorILNS1_17partition_subalgoE5EiNS0_10empty_typeEbEEZZNS1_14partition_implILS5_5ELb0ES3_mN6thrust23THRUST_200600_302600_NS17counting_iteratorIiNSA_11use_defaultESC_SC_EEPS6_NSA_18transform_iteratorINSA_8identityIiEENSA_6detail15normal_iteratorINSA_10device_ptrIiEEEESC_SC_EENS0_5tupleIJSM_S6_EEENSO_IJSE_SE_EEES6_PlJS6_EEE10hipError_tPvRmT3_T4_T5_T6_T7_T9_mT8_P12ihipStream_tbDpT10_ENKUlT_T0_E_clISt17integral_constantIbLb0EES1B_EEDaS16_S17_EUlS16_E_NS1_11comp_targetILNS1_3genE4ELNS1_11target_archE910ELNS1_3gpuE8ELNS1_3repE0EEENS1_30default_config_static_selectorELNS0_4arch9wavefront6targetE0EEEvT1_.uses_flat_scratch, 0
	.set _ZN7rocprim17ROCPRIM_400000_NS6detail17trampoline_kernelINS0_14default_configENS1_25partition_config_selectorILNS1_17partition_subalgoE5EiNS0_10empty_typeEbEEZZNS1_14partition_implILS5_5ELb0ES3_mN6thrust23THRUST_200600_302600_NS17counting_iteratorIiNSA_11use_defaultESC_SC_EEPS6_NSA_18transform_iteratorINSA_8identityIiEENSA_6detail15normal_iteratorINSA_10device_ptrIiEEEESC_SC_EENS0_5tupleIJSM_S6_EEENSO_IJSE_SE_EEES6_PlJS6_EEE10hipError_tPvRmT3_T4_T5_T6_T7_T9_mT8_P12ihipStream_tbDpT10_ENKUlT_T0_E_clISt17integral_constantIbLb0EES1B_EEDaS16_S17_EUlS16_E_NS1_11comp_targetILNS1_3genE4ELNS1_11target_archE910ELNS1_3gpuE8ELNS1_3repE0EEENS1_30default_config_static_selectorELNS0_4arch9wavefront6targetE0EEEvT1_.has_dyn_sized_stack, 0
	.set _ZN7rocprim17ROCPRIM_400000_NS6detail17trampoline_kernelINS0_14default_configENS1_25partition_config_selectorILNS1_17partition_subalgoE5EiNS0_10empty_typeEbEEZZNS1_14partition_implILS5_5ELb0ES3_mN6thrust23THRUST_200600_302600_NS17counting_iteratorIiNSA_11use_defaultESC_SC_EEPS6_NSA_18transform_iteratorINSA_8identityIiEENSA_6detail15normal_iteratorINSA_10device_ptrIiEEEESC_SC_EENS0_5tupleIJSM_S6_EEENSO_IJSE_SE_EEES6_PlJS6_EEE10hipError_tPvRmT3_T4_T5_T6_T7_T9_mT8_P12ihipStream_tbDpT10_ENKUlT_T0_E_clISt17integral_constantIbLb0EES1B_EEDaS16_S17_EUlS16_E_NS1_11comp_targetILNS1_3genE4ELNS1_11target_archE910ELNS1_3gpuE8ELNS1_3repE0EEENS1_30default_config_static_selectorELNS0_4arch9wavefront6targetE0EEEvT1_.has_recursion, 0
	.set _ZN7rocprim17ROCPRIM_400000_NS6detail17trampoline_kernelINS0_14default_configENS1_25partition_config_selectorILNS1_17partition_subalgoE5EiNS0_10empty_typeEbEEZZNS1_14partition_implILS5_5ELb0ES3_mN6thrust23THRUST_200600_302600_NS17counting_iteratorIiNSA_11use_defaultESC_SC_EEPS6_NSA_18transform_iteratorINSA_8identityIiEENSA_6detail15normal_iteratorINSA_10device_ptrIiEEEESC_SC_EENS0_5tupleIJSM_S6_EEENSO_IJSE_SE_EEES6_PlJS6_EEE10hipError_tPvRmT3_T4_T5_T6_T7_T9_mT8_P12ihipStream_tbDpT10_ENKUlT_T0_E_clISt17integral_constantIbLb0EES1B_EEDaS16_S17_EUlS16_E_NS1_11comp_targetILNS1_3genE4ELNS1_11target_archE910ELNS1_3gpuE8ELNS1_3repE0EEENS1_30default_config_static_selectorELNS0_4arch9wavefront6targetE0EEEvT1_.has_indirect_call, 0
	.section	.AMDGPU.csdata,"",@progbits
; Kernel info:
; codeLenInByte = 0
; TotalNumSgprs: 0
; NumVgprs: 0
; ScratchSize: 0
; MemoryBound: 0
; FloatMode: 240
; IeeeMode: 1
; LDSByteSize: 0 bytes/workgroup (compile time only)
; SGPRBlocks: 0
; VGPRBlocks: 0
; NumSGPRsForWavesPerEU: 1
; NumVGPRsForWavesPerEU: 1
; Occupancy: 16
; WaveLimiterHint : 0
; COMPUTE_PGM_RSRC2:SCRATCH_EN: 0
; COMPUTE_PGM_RSRC2:USER_SGPR: 2
; COMPUTE_PGM_RSRC2:TRAP_HANDLER: 0
; COMPUTE_PGM_RSRC2:TGID_X_EN: 1
; COMPUTE_PGM_RSRC2:TGID_Y_EN: 0
; COMPUTE_PGM_RSRC2:TGID_Z_EN: 0
; COMPUTE_PGM_RSRC2:TIDIG_COMP_CNT: 0
	.section	.text._ZN7rocprim17ROCPRIM_400000_NS6detail17trampoline_kernelINS0_14default_configENS1_25partition_config_selectorILNS1_17partition_subalgoE5EiNS0_10empty_typeEbEEZZNS1_14partition_implILS5_5ELb0ES3_mN6thrust23THRUST_200600_302600_NS17counting_iteratorIiNSA_11use_defaultESC_SC_EEPS6_NSA_18transform_iteratorINSA_8identityIiEENSA_6detail15normal_iteratorINSA_10device_ptrIiEEEESC_SC_EENS0_5tupleIJSM_S6_EEENSO_IJSE_SE_EEES6_PlJS6_EEE10hipError_tPvRmT3_T4_T5_T6_T7_T9_mT8_P12ihipStream_tbDpT10_ENKUlT_T0_E_clISt17integral_constantIbLb0EES1B_EEDaS16_S17_EUlS16_E_NS1_11comp_targetILNS1_3genE3ELNS1_11target_archE908ELNS1_3gpuE7ELNS1_3repE0EEENS1_30default_config_static_selectorELNS0_4arch9wavefront6targetE0EEEvT1_,"axG",@progbits,_ZN7rocprim17ROCPRIM_400000_NS6detail17trampoline_kernelINS0_14default_configENS1_25partition_config_selectorILNS1_17partition_subalgoE5EiNS0_10empty_typeEbEEZZNS1_14partition_implILS5_5ELb0ES3_mN6thrust23THRUST_200600_302600_NS17counting_iteratorIiNSA_11use_defaultESC_SC_EEPS6_NSA_18transform_iteratorINSA_8identityIiEENSA_6detail15normal_iteratorINSA_10device_ptrIiEEEESC_SC_EENS0_5tupleIJSM_S6_EEENSO_IJSE_SE_EEES6_PlJS6_EEE10hipError_tPvRmT3_T4_T5_T6_T7_T9_mT8_P12ihipStream_tbDpT10_ENKUlT_T0_E_clISt17integral_constantIbLb0EES1B_EEDaS16_S17_EUlS16_E_NS1_11comp_targetILNS1_3genE3ELNS1_11target_archE908ELNS1_3gpuE7ELNS1_3repE0EEENS1_30default_config_static_selectorELNS0_4arch9wavefront6targetE0EEEvT1_,comdat
	.protected	_ZN7rocprim17ROCPRIM_400000_NS6detail17trampoline_kernelINS0_14default_configENS1_25partition_config_selectorILNS1_17partition_subalgoE5EiNS0_10empty_typeEbEEZZNS1_14partition_implILS5_5ELb0ES3_mN6thrust23THRUST_200600_302600_NS17counting_iteratorIiNSA_11use_defaultESC_SC_EEPS6_NSA_18transform_iteratorINSA_8identityIiEENSA_6detail15normal_iteratorINSA_10device_ptrIiEEEESC_SC_EENS0_5tupleIJSM_S6_EEENSO_IJSE_SE_EEES6_PlJS6_EEE10hipError_tPvRmT3_T4_T5_T6_T7_T9_mT8_P12ihipStream_tbDpT10_ENKUlT_T0_E_clISt17integral_constantIbLb0EES1B_EEDaS16_S17_EUlS16_E_NS1_11comp_targetILNS1_3genE3ELNS1_11target_archE908ELNS1_3gpuE7ELNS1_3repE0EEENS1_30default_config_static_selectorELNS0_4arch9wavefront6targetE0EEEvT1_ ; -- Begin function _ZN7rocprim17ROCPRIM_400000_NS6detail17trampoline_kernelINS0_14default_configENS1_25partition_config_selectorILNS1_17partition_subalgoE5EiNS0_10empty_typeEbEEZZNS1_14partition_implILS5_5ELb0ES3_mN6thrust23THRUST_200600_302600_NS17counting_iteratorIiNSA_11use_defaultESC_SC_EEPS6_NSA_18transform_iteratorINSA_8identityIiEENSA_6detail15normal_iteratorINSA_10device_ptrIiEEEESC_SC_EENS0_5tupleIJSM_S6_EEENSO_IJSE_SE_EEES6_PlJS6_EEE10hipError_tPvRmT3_T4_T5_T6_T7_T9_mT8_P12ihipStream_tbDpT10_ENKUlT_T0_E_clISt17integral_constantIbLb0EES1B_EEDaS16_S17_EUlS16_E_NS1_11comp_targetILNS1_3genE3ELNS1_11target_archE908ELNS1_3gpuE7ELNS1_3repE0EEENS1_30default_config_static_selectorELNS0_4arch9wavefront6targetE0EEEvT1_
	.globl	_ZN7rocprim17ROCPRIM_400000_NS6detail17trampoline_kernelINS0_14default_configENS1_25partition_config_selectorILNS1_17partition_subalgoE5EiNS0_10empty_typeEbEEZZNS1_14partition_implILS5_5ELb0ES3_mN6thrust23THRUST_200600_302600_NS17counting_iteratorIiNSA_11use_defaultESC_SC_EEPS6_NSA_18transform_iteratorINSA_8identityIiEENSA_6detail15normal_iteratorINSA_10device_ptrIiEEEESC_SC_EENS0_5tupleIJSM_S6_EEENSO_IJSE_SE_EEES6_PlJS6_EEE10hipError_tPvRmT3_T4_T5_T6_T7_T9_mT8_P12ihipStream_tbDpT10_ENKUlT_T0_E_clISt17integral_constantIbLb0EES1B_EEDaS16_S17_EUlS16_E_NS1_11comp_targetILNS1_3genE3ELNS1_11target_archE908ELNS1_3gpuE7ELNS1_3repE0EEENS1_30default_config_static_selectorELNS0_4arch9wavefront6targetE0EEEvT1_
	.p2align	8
	.type	_ZN7rocprim17ROCPRIM_400000_NS6detail17trampoline_kernelINS0_14default_configENS1_25partition_config_selectorILNS1_17partition_subalgoE5EiNS0_10empty_typeEbEEZZNS1_14partition_implILS5_5ELb0ES3_mN6thrust23THRUST_200600_302600_NS17counting_iteratorIiNSA_11use_defaultESC_SC_EEPS6_NSA_18transform_iteratorINSA_8identityIiEENSA_6detail15normal_iteratorINSA_10device_ptrIiEEEESC_SC_EENS0_5tupleIJSM_S6_EEENSO_IJSE_SE_EEES6_PlJS6_EEE10hipError_tPvRmT3_T4_T5_T6_T7_T9_mT8_P12ihipStream_tbDpT10_ENKUlT_T0_E_clISt17integral_constantIbLb0EES1B_EEDaS16_S17_EUlS16_E_NS1_11comp_targetILNS1_3genE3ELNS1_11target_archE908ELNS1_3gpuE7ELNS1_3repE0EEENS1_30default_config_static_selectorELNS0_4arch9wavefront6targetE0EEEvT1_,@function
_ZN7rocprim17ROCPRIM_400000_NS6detail17trampoline_kernelINS0_14default_configENS1_25partition_config_selectorILNS1_17partition_subalgoE5EiNS0_10empty_typeEbEEZZNS1_14partition_implILS5_5ELb0ES3_mN6thrust23THRUST_200600_302600_NS17counting_iteratorIiNSA_11use_defaultESC_SC_EEPS6_NSA_18transform_iteratorINSA_8identityIiEENSA_6detail15normal_iteratorINSA_10device_ptrIiEEEESC_SC_EENS0_5tupleIJSM_S6_EEENSO_IJSE_SE_EEES6_PlJS6_EEE10hipError_tPvRmT3_T4_T5_T6_T7_T9_mT8_P12ihipStream_tbDpT10_ENKUlT_T0_E_clISt17integral_constantIbLb0EES1B_EEDaS16_S17_EUlS16_E_NS1_11comp_targetILNS1_3genE3ELNS1_11target_archE908ELNS1_3gpuE7ELNS1_3repE0EEENS1_30default_config_static_selectorELNS0_4arch9wavefront6targetE0EEEvT1_: ; @_ZN7rocprim17ROCPRIM_400000_NS6detail17trampoline_kernelINS0_14default_configENS1_25partition_config_selectorILNS1_17partition_subalgoE5EiNS0_10empty_typeEbEEZZNS1_14partition_implILS5_5ELb0ES3_mN6thrust23THRUST_200600_302600_NS17counting_iteratorIiNSA_11use_defaultESC_SC_EEPS6_NSA_18transform_iteratorINSA_8identityIiEENSA_6detail15normal_iteratorINSA_10device_ptrIiEEEESC_SC_EENS0_5tupleIJSM_S6_EEENSO_IJSE_SE_EEES6_PlJS6_EEE10hipError_tPvRmT3_T4_T5_T6_T7_T9_mT8_P12ihipStream_tbDpT10_ENKUlT_T0_E_clISt17integral_constantIbLb0EES1B_EEDaS16_S17_EUlS16_E_NS1_11comp_targetILNS1_3genE3ELNS1_11target_archE908ELNS1_3gpuE7ELNS1_3repE0EEENS1_30default_config_static_selectorELNS0_4arch9wavefront6targetE0EEEvT1_
; %bb.0:
	.section	.rodata,"a",@progbits
	.p2align	6, 0x0
	.amdhsa_kernel _ZN7rocprim17ROCPRIM_400000_NS6detail17trampoline_kernelINS0_14default_configENS1_25partition_config_selectorILNS1_17partition_subalgoE5EiNS0_10empty_typeEbEEZZNS1_14partition_implILS5_5ELb0ES3_mN6thrust23THRUST_200600_302600_NS17counting_iteratorIiNSA_11use_defaultESC_SC_EEPS6_NSA_18transform_iteratorINSA_8identityIiEENSA_6detail15normal_iteratorINSA_10device_ptrIiEEEESC_SC_EENS0_5tupleIJSM_S6_EEENSO_IJSE_SE_EEES6_PlJS6_EEE10hipError_tPvRmT3_T4_T5_T6_T7_T9_mT8_P12ihipStream_tbDpT10_ENKUlT_T0_E_clISt17integral_constantIbLb0EES1B_EEDaS16_S17_EUlS16_E_NS1_11comp_targetILNS1_3genE3ELNS1_11target_archE908ELNS1_3gpuE7ELNS1_3repE0EEENS1_30default_config_static_selectorELNS0_4arch9wavefront6targetE0EEEvT1_
		.amdhsa_group_segment_fixed_size 0
		.amdhsa_private_segment_fixed_size 0
		.amdhsa_kernarg_size 120
		.amdhsa_user_sgpr_count 2
		.amdhsa_user_sgpr_dispatch_ptr 0
		.amdhsa_user_sgpr_queue_ptr 0
		.amdhsa_user_sgpr_kernarg_segment_ptr 1
		.amdhsa_user_sgpr_dispatch_id 0
		.amdhsa_user_sgpr_private_segment_size 0
		.amdhsa_wavefront_size32 1
		.amdhsa_uses_dynamic_stack 0
		.amdhsa_enable_private_segment 0
		.amdhsa_system_sgpr_workgroup_id_x 1
		.amdhsa_system_sgpr_workgroup_id_y 0
		.amdhsa_system_sgpr_workgroup_id_z 0
		.amdhsa_system_sgpr_workgroup_info 0
		.amdhsa_system_vgpr_workitem_id 0
		.amdhsa_next_free_vgpr 1
		.amdhsa_next_free_sgpr 1
		.amdhsa_reserve_vcc 0
		.amdhsa_float_round_mode_32 0
		.amdhsa_float_round_mode_16_64 0
		.amdhsa_float_denorm_mode_32 3
		.amdhsa_float_denorm_mode_16_64 3
		.amdhsa_fp16_overflow 0
		.amdhsa_workgroup_processor_mode 1
		.amdhsa_memory_ordered 1
		.amdhsa_forward_progress 1
		.amdhsa_inst_pref_size 0
		.amdhsa_round_robin_scheduling 0
		.amdhsa_exception_fp_ieee_invalid_op 0
		.amdhsa_exception_fp_denorm_src 0
		.amdhsa_exception_fp_ieee_div_zero 0
		.amdhsa_exception_fp_ieee_overflow 0
		.amdhsa_exception_fp_ieee_underflow 0
		.amdhsa_exception_fp_ieee_inexact 0
		.amdhsa_exception_int_div_zero 0
	.end_amdhsa_kernel
	.section	.text._ZN7rocprim17ROCPRIM_400000_NS6detail17trampoline_kernelINS0_14default_configENS1_25partition_config_selectorILNS1_17partition_subalgoE5EiNS0_10empty_typeEbEEZZNS1_14partition_implILS5_5ELb0ES3_mN6thrust23THRUST_200600_302600_NS17counting_iteratorIiNSA_11use_defaultESC_SC_EEPS6_NSA_18transform_iteratorINSA_8identityIiEENSA_6detail15normal_iteratorINSA_10device_ptrIiEEEESC_SC_EENS0_5tupleIJSM_S6_EEENSO_IJSE_SE_EEES6_PlJS6_EEE10hipError_tPvRmT3_T4_T5_T6_T7_T9_mT8_P12ihipStream_tbDpT10_ENKUlT_T0_E_clISt17integral_constantIbLb0EES1B_EEDaS16_S17_EUlS16_E_NS1_11comp_targetILNS1_3genE3ELNS1_11target_archE908ELNS1_3gpuE7ELNS1_3repE0EEENS1_30default_config_static_selectorELNS0_4arch9wavefront6targetE0EEEvT1_,"axG",@progbits,_ZN7rocprim17ROCPRIM_400000_NS6detail17trampoline_kernelINS0_14default_configENS1_25partition_config_selectorILNS1_17partition_subalgoE5EiNS0_10empty_typeEbEEZZNS1_14partition_implILS5_5ELb0ES3_mN6thrust23THRUST_200600_302600_NS17counting_iteratorIiNSA_11use_defaultESC_SC_EEPS6_NSA_18transform_iteratorINSA_8identityIiEENSA_6detail15normal_iteratorINSA_10device_ptrIiEEEESC_SC_EENS0_5tupleIJSM_S6_EEENSO_IJSE_SE_EEES6_PlJS6_EEE10hipError_tPvRmT3_T4_T5_T6_T7_T9_mT8_P12ihipStream_tbDpT10_ENKUlT_T0_E_clISt17integral_constantIbLb0EES1B_EEDaS16_S17_EUlS16_E_NS1_11comp_targetILNS1_3genE3ELNS1_11target_archE908ELNS1_3gpuE7ELNS1_3repE0EEENS1_30default_config_static_selectorELNS0_4arch9wavefront6targetE0EEEvT1_,comdat
.Lfunc_end5:
	.size	_ZN7rocprim17ROCPRIM_400000_NS6detail17trampoline_kernelINS0_14default_configENS1_25partition_config_selectorILNS1_17partition_subalgoE5EiNS0_10empty_typeEbEEZZNS1_14partition_implILS5_5ELb0ES3_mN6thrust23THRUST_200600_302600_NS17counting_iteratorIiNSA_11use_defaultESC_SC_EEPS6_NSA_18transform_iteratorINSA_8identityIiEENSA_6detail15normal_iteratorINSA_10device_ptrIiEEEESC_SC_EENS0_5tupleIJSM_S6_EEENSO_IJSE_SE_EEES6_PlJS6_EEE10hipError_tPvRmT3_T4_T5_T6_T7_T9_mT8_P12ihipStream_tbDpT10_ENKUlT_T0_E_clISt17integral_constantIbLb0EES1B_EEDaS16_S17_EUlS16_E_NS1_11comp_targetILNS1_3genE3ELNS1_11target_archE908ELNS1_3gpuE7ELNS1_3repE0EEENS1_30default_config_static_selectorELNS0_4arch9wavefront6targetE0EEEvT1_, .Lfunc_end5-_ZN7rocprim17ROCPRIM_400000_NS6detail17trampoline_kernelINS0_14default_configENS1_25partition_config_selectorILNS1_17partition_subalgoE5EiNS0_10empty_typeEbEEZZNS1_14partition_implILS5_5ELb0ES3_mN6thrust23THRUST_200600_302600_NS17counting_iteratorIiNSA_11use_defaultESC_SC_EEPS6_NSA_18transform_iteratorINSA_8identityIiEENSA_6detail15normal_iteratorINSA_10device_ptrIiEEEESC_SC_EENS0_5tupleIJSM_S6_EEENSO_IJSE_SE_EEES6_PlJS6_EEE10hipError_tPvRmT3_T4_T5_T6_T7_T9_mT8_P12ihipStream_tbDpT10_ENKUlT_T0_E_clISt17integral_constantIbLb0EES1B_EEDaS16_S17_EUlS16_E_NS1_11comp_targetILNS1_3genE3ELNS1_11target_archE908ELNS1_3gpuE7ELNS1_3repE0EEENS1_30default_config_static_selectorELNS0_4arch9wavefront6targetE0EEEvT1_
                                        ; -- End function
	.set _ZN7rocprim17ROCPRIM_400000_NS6detail17trampoline_kernelINS0_14default_configENS1_25partition_config_selectorILNS1_17partition_subalgoE5EiNS0_10empty_typeEbEEZZNS1_14partition_implILS5_5ELb0ES3_mN6thrust23THRUST_200600_302600_NS17counting_iteratorIiNSA_11use_defaultESC_SC_EEPS6_NSA_18transform_iteratorINSA_8identityIiEENSA_6detail15normal_iteratorINSA_10device_ptrIiEEEESC_SC_EENS0_5tupleIJSM_S6_EEENSO_IJSE_SE_EEES6_PlJS6_EEE10hipError_tPvRmT3_T4_T5_T6_T7_T9_mT8_P12ihipStream_tbDpT10_ENKUlT_T0_E_clISt17integral_constantIbLb0EES1B_EEDaS16_S17_EUlS16_E_NS1_11comp_targetILNS1_3genE3ELNS1_11target_archE908ELNS1_3gpuE7ELNS1_3repE0EEENS1_30default_config_static_selectorELNS0_4arch9wavefront6targetE0EEEvT1_.num_vgpr, 0
	.set _ZN7rocprim17ROCPRIM_400000_NS6detail17trampoline_kernelINS0_14default_configENS1_25partition_config_selectorILNS1_17partition_subalgoE5EiNS0_10empty_typeEbEEZZNS1_14partition_implILS5_5ELb0ES3_mN6thrust23THRUST_200600_302600_NS17counting_iteratorIiNSA_11use_defaultESC_SC_EEPS6_NSA_18transform_iteratorINSA_8identityIiEENSA_6detail15normal_iteratorINSA_10device_ptrIiEEEESC_SC_EENS0_5tupleIJSM_S6_EEENSO_IJSE_SE_EEES6_PlJS6_EEE10hipError_tPvRmT3_T4_T5_T6_T7_T9_mT8_P12ihipStream_tbDpT10_ENKUlT_T0_E_clISt17integral_constantIbLb0EES1B_EEDaS16_S17_EUlS16_E_NS1_11comp_targetILNS1_3genE3ELNS1_11target_archE908ELNS1_3gpuE7ELNS1_3repE0EEENS1_30default_config_static_selectorELNS0_4arch9wavefront6targetE0EEEvT1_.num_agpr, 0
	.set _ZN7rocprim17ROCPRIM_400000_NS6detail17trampoline_kernelINS0_14default_configENS1_25partition_config_selectorILNS1_17partition_subalgoE5EiNS0_10empty_typeEbEEZZNS1_14partition_implILS5_5ELb0ES3_mN6thrust23THRUST_200600_302600_NS17counting_iteratorIiNSA_11use_defaultESC_SC_EEPS6_NSA_18transform_iteratorINSA_8identityIiEENSA_6detail15normal_iteratorINSA_10device_ptrIiEEEESC_SC_EENS0_5tupleIJSM_S6_EEENSO_IJSE_SE_EEES6_PlJS6_EEE10hipError_tPvRmT3_T4_T5_T6_T7_T9_mT8_P12ihipStream_tbDpT10_ENKUlT_T0_E_clISt17integral_constantIbLb0EES1B_EEDaS16_S17_EUlS16_E_NS1_11comp_targetILNS1_3genE3ELNS1_11target_archE908ELNS1_3gpuE7ELNS1_3repE0EEENS1_30default_config_static_selectorELNS0_4arch9wavefront6targetE0EEEvT1_.numbered_sgpr, 0
	.set _ZN7rocprim17ROCPRIM_400000_NS6detail17trampoline_kernelINS0_14default_configENS1_25partition_config_selectorILNS1_17partition_subalgoE5EiNS0_10empty_typeEbEEZZNS1_14partition_implILS5_5ELb0ES3_mN6thrust23THRUST_200600_302600_NS17counting_iteratorIiNSA_11use_defaultESC_SC_EEPS6_NSA_18transform_iteratorINSA_8identityIiEENSA_6detail15normal_iteratorINSA_10device_ptrIiEEEESC_SC_EENS0_5tupleIJSM_S6_EEENSO_IJSE_SE_EEES6_PlJS6_EEE10hipError_tPvRmT3_T4_T5_T6_T7_T9_mT8_P12ihipStream_tbDpT10_ENKUlT_T0_E_clISt17integral_constantIbLb0EES1B_EEDaS16_S17_EUlS16_E_NS1_11comp_targetILNS1_3genE3ELNS1_11target_archE908ELNS1_3gpuE7ELNS1_3repE0EEENS1_30default_config_static_selectorELNS0_4arch9wavefront6targetE0EEEvT1_.num_named_barrier, 0
	.set _ZN7rocprim17ROCPRIM_400000_NS6detail17trampoline_kernelINS0_14default_configENS1_25partition_config_selectorILNS1_17partition_subalgoE5EiNS0_10empty_typeEbEEZZNS1_14partition_implILS5_5ELb0ES3_mN6thrust23THRUST_200600_302600_NS17counting_iteratorIiNSA_11use_defaultESC_SC_EEPS6_NSA_18transform_iteratorINSA_8identityIiEENSA_6detail15normal_iteratorINSA_10device_ptrIiEEEESC_SC_EENS0_5tupleIJSM_S6_EEENSO_IJSE_SE_EEES6_PlJS6_EEE10hipError_tPvRmT3_T4_T5_T6_T7_T9_mT8_P12ihipStream_tbDpT10_ENKUlT_T0_E_clISt17integral_constantIbLb0EES1B_EEDaS16_S17_EUlS16_E_NS1_11comp_targetILNS1_3genE3ELNS1_11target_archE908ELNS1_3gpuE7ELNS1_3repE0EEENS1_30default_config_static_selectorELNS0_4arch9wavefront6targetE0EEEvT1_.private_seg_size, 0
	.set _ZN7rocprim17ROCPRIM_400000_NS6detail17trampoline_kernelINS0_14default_configENS1_25partition_config_selectorILNS1_17partition_subalgoE5EiNS0_10empty_typeEbEEZZNS1_14partition_implILS5_5ELb0ES3_mN6thrust23THRUST_200600_302600_NS17counting_iteratorIiNSA_11use_defaultESC_SC_EEPS6_NSA_18transform_iteratorINSA_8identityIiEENSA_6detail15normal_iteratorINSA_10device_ptrIiEEEESC_SC_EENS0_5tupleIJSM_S6_EEENSO_IJSE_SE_EEES6_PlJS6_EEE10hipError_tPvRmT3_T4_T5_T6_T7_T9_mT8_P12ihipStream_tbDpT10_ENKUlT_T0_E_clISt17integral_constantIbLb0EES1B_EEDaS16_S17_EUlS16_E_NS1_11comp_targetILNS1_3genE3ELNS1_11target_archE908ELNS1_3gpuE7ELNS1_3repE0EEENS1_30default_config_static_selectorELNS0_4arch9wavefront6targetE0EEEvT1_.uses_vcc, 0
	.set _ZN7rocprim17ROCPRIM_400000_NS6detail17trampoline_kernelINS0_14default_configENS1_25partition_config_selectorILNS1_17partition_subalgoE5EiNS0_10empty_typeEbEEZZNS1_14partition_implILS5_5ELb0ES3_mN6thrust23THRUST_200600_302600_NS17counting_iteratorIiNSA_11use_defaultESC_SC_EEPS6_NSA_18transform_iteratorINSA_8identityIiEENSA_6detail15normal_iteratorINSA_10device_ptrIiEEEESC_SC_EENS0_5tupleIJSM_S6_EEENSO_IJSE_SE_EEES6_PlJS6_EEE10hipError_tPvRmT3_T4_T5_T6_T7_T9_mT8_P12ihipStream_tbDpT10_ENKUlT_T0_E_clISt17integral_constantIbLb0EES1B_EEDaS16_S17_EUlS16_E_NS1_11comp_targetILNS1_3genE3ELNS1_11target_archE908ELNS1_3gpuE7ELNS1_3repE0EEENS1_30default_config_static_selectorELNS0_4arch9wavefront6targetE0EEEvT1_.uses_flat_scratch, 0
	.set _ZN7rocprim17ROCPRIM_400000_NS6detail17trampoline_kernelINS0_14default_configENS1_25partition_config_selectorILNS1_17partition_subalgoE5EiNS0_10empty_typeEbEEZZNS1_14partition_implILS5_5ELb0ES3_mN6thrust23THRUST_200600_302600_NS17counting_iteratorIiNSA_11use_defaultESC_SC_EEPS6_NSA_18transform_iteratorINSA_8identityIiEENSA_6detail15normal_iteratorINSA_10device_ptrIiEEEESC_SC_EENS0_5tupleIJSM_S6_EEENSO_IJSE_SE_EEES6_PlJS6_EEE10hipError_tPvRmT3_T4_T5_T6_T7_T9_mT8_P12ihipStream_tbDpT10_ENKUlT_T0_E_clISt17integral_constantIbLb0EES1B_EEDaS16_S17_EUlS16_E_NS1_11comp_targetILNS1_3genE3ELNS1_11target_archE908ELNS1_3gpuE7ELNS1_3repE0EEENS1_30default_config_static_selectorELNS0_4arch9wavefront6targetE0EEEvT1_.has_dyn_sized_stack, 0
	.set _ZN7rocprim17ROCPRIM_400000_NS6detail17trampoline_kernelINS0_14default_configENS1_25partition_config_selectorILNS1_17partition_subalgoE5EiNS0_10empty_typeEbEEZZNS1_14partition_implILS5_5ELb0ES3_mN6thrust23THRUST_200600_302600_NS17counting_iteratorIiNSA_11use_defaultESC_SC_EEPS6_NSA_18transform_iteratorINSA_8identityIiEENSA_6detail15normal_iteratorINSA_10device_ptrIiEEEESC_SC_EENS0_5tupleIJSM_S6_EEENSO_IJSE_SE_EEES6_PlJS6_EEE10hipError_tPvRmT3_T4_T5_T6_T7_T9_mT8_P12ihipStream_tbDpT10_ENKUlT_T0_E_clISt17integral_constantIbLb0EES1B_EEDaS16_S17_EUlS16_E_NS1_11comp_targetILNS1_3genE3ELNS1_11target_archE908ELNS1_3gpuE7ELNS1_3repE0EEENS1_30default_config_static_selectorELNS0_4arch9wavefront6targetE0EEEvT1_.has_recursion, 0
	.set _ZN7rocprim17ROCPRIM_400000_NS6detail17trampoline_kernelINS0_14default_configENS1_25partition_config_selectorILNS1_17partition_subalgoE5EiNS0_10empty_typeEbEEZZNS1_14partition_implILS5_5ELb0ES3_mN6thrust23THRUST_200600_302600_NS17counting_iteratorIiNSA_11use_defaultESC_SC_EEPS6_NSA_18transform_iteratorINSA_8identityIiEENSA_6detail15normal_iteratorINSA_10device_ptrIiEEEESC_SC_EENS0_5tupleIJSM_S6_EEENSO_IJSE_SE_EEES6_PlJS6_EEE10hipError_tPvRmT3_T4_T5_T6_T7_T9_mT8_P12ihipStream_tbDpT10_ENKUlT_T0_E_clISt17integral_constantIbLb0EES1B_EEDaS16_S17_EUlS16_E_NS1_11comp_targetILNS1_3genE3ELNS1_11target_archE908ELNS1_3gpuE7ELNS1_3repE0EEENS1_30default_config_static_selectorELNS0_4arch9wavefront6targetE0EEEvT1_.has_indirect_call, 0
	.section	.AMDGPU.csdata,"",@progbits
; Kernel info:
; codeLenInByte = 0
; TotalNumSgprs: 0
; NumVgprs: 0
; ScratchSize: 0
; MemoryBound: 0
; FloatMode: 240
; IeeeMode: 1
; LDSByteSize: 0 bytes/workgroup (compile time only)
; SGPRBlocks: 0
; VGPRBlocks: 0
; NumSGPRsForWavesPerEU: 1
; NumVGPRsForWavesPerEU: 1
; Occupancy: 16
; WaveLimiterHint : 0
; COMPUTE_PGM_RSRC2:SCRATCH_EN: 0
; COMPUTE_PGM_RSRC2:USER_SGPR: 2
; COMPUTE_PGM_RSRC2:TRAP_HANDLER: 0
; COMPUTE_PGM_RSRC2:TGID_X_EN: 1
; COMPUTE_PGM_RSRC2:TGID_Y_EN: 0
; COMPUTE_PGM_RSRC2:TGID_Z_EN: 0
; COMPUTE_PGM_RSRC2:TIDIG_COMP_CNT: 0
	.section	.text._ZN7rocprim17ROCPRIM_400000_NS6detail17trampoline_kernelINS0_14default_configENS1_25partition_config_selectorILNS1_17partition_subalgoE5EiNS0_10empty_typeEbEEZZNS1_14partition_implILS5_5ELb0ES3_mN6thrust23THRUST_200600_302600_NS17counting_iteratorIiNSA_11use_defaultESC_SC_EEPS6_NSA_18transform_iteratorINSA_8identityIiEENSA_6detail15normal_iteratorINSA_10device_ptrIiEEEESC_SC_EENS0_5tupleIJSM_S6_EEENSO_IJSE_SE_EEES6_PlJS6_EEE10hipError_tPvRmT3_T4_T5_T6_T7_T9_mT8_P12ihipStream_tbDpT10_ENKUlT_T0_E_clISt17integral_constantIbLb0EES1B_EEDaS16_S17_EUlS16_E_NS1_11comp_targetILNS1_3genE2ELNS1_11target_archE906ELNS1_3gpuE6ELNS1_3repE0EEENS1_30default_config_static_selectorELNS0_4arch9wavefront6targetE0EEEvT1_,"axG",@progbits,_ZN7rocprim17ROCPRIM_400000_NS6detail17trampoline_kernelINS0_14default_configENS1_25partition_config_selectorILNS1_17partition_subalgoE5EiNS0_10empty_typeEbEEZZNS1_14partition_implILS5_5ELb0ES3_mN6thrust23THRUST_200600_302600_NS17counting_iteratorIiNSA_11use_defaultESC_SC_EEPS6_NSA_18transform_iteratorINSA_8identityIiEENSA_6detail15normal_iteratorINSA_10device_ptrIiEEEESC_SC_EENS0_5tupleIJSM_S6_EEENSO_IJSE_SE_EEES6_PlJS6_EEE10hipError_tPvRmT3_T4_T5_T6_T7_T9_mT8_P12ihipStream_tbDpT10_ENKUlT_T0_E_clISt17integral_constantIbLb0EES1B_EEDaS16_S17_EUlS16_E_NS1_11comp_targetILNS1_3genE2ELNS1_11target_archE906ELNS1_3gpuE6ELNS1_3repE0EEENS1_30default_config_static_selectorELNS0_4arch9wavefront6targetE0EEEvT1_,comdat
	.protected	_ZN7rocprim17ROCPRIM_400000_NS6detail17trampoline_kernelINS0_14default_configENS1_25partition_config_selectorILNS1_17partition_subalgoE5EiNS0_10empty_typeEbEEZZNS1_14partition_implILS5_5ELb0ES3_mN6thrust23THRUST_200600_302600_NS17counting_iteratorIiNSA_11use_defaultESC_SC_EEPS6_NSA_18transform_iteratorINSA_8identityIiEENSA_6detail15normal_iteratorINSA_10device_ptrIiEEEESC_SC_EENS0_5tupleIJSM_S6_EEENSO_IJSE_SE_EEES6_PlJS6_EEE10hipError_tPvRmT3_T4_T5_T6_T7_T9_mT8_P12ihipStream_tbDpT10_ENKUlT_T0_E_clISt17integral_constantIbLb0EES1B_EEDaS16_S17_EUlS16_E_NS1_11comp_targetILNS1_3genE2ELNS1_11target_archE906ELNS1_3gpuE6ELNS1_3repE0EEENS1_30default_config_static_selectorELNS0_4arch9wavefront6targetE0EEEvT1_ ; -- Begin function _ZN7rocprim17ROCPRIM_400000_NS6detail17trampoline_kernelINS0_14default_configENS1_25partition_config_selectorILNS1_17partition_subalgoE5EiNS0_10empty_typeEbEEZZNS1_14partition_implILS5_5ELb0ES3_mN6thrust23THRUST_200600_302600_NS17counting_iteratorIiNSA_11use_defaultESC_SC_EEPS6_NSA_18transform_iteratorINSA_8identityIiEENSA_6detail15normal_iteratorINSA_10device_ptrIiEEEESC_SC_EENS0_5tupleIJSM_S6_EEENSO_IJSE_SE_EEES6_PlJS6_EEE10hipError_tPvRmT3_T4_T5_T6_T7_T9_mT8_P12ihipStream_tbDpT10_ENKUlT_T0_E_clISt17integral_constantIbLb0EES1B_EEDaS16_S17_EUlS16_E_NS1_11comp_targetILNS1_3genE2ELNS1_11target_archE906ELNS1_3gpuE6ELNS1_3repE0EEENS1_30default_config_static_selectorELNS0_4arch9wavefront6targetE0EEEvT1_
	.globl	_ZN7rocprim17ROCPRIM_400000_NS6detail17trampoline_kernelINS0_14default_configENS1_25partition_config_selectorILNS1_17partition_subalgoE5EiNS0_10empty_typeEbEEZZNS1_14partition_implILS5_5ELb0ES3_mN6thrust23THRUST_200600_302600_NS17counting_iteratorIiNSA_11use_defaultESC_SC_EEPS6_NSA_18transform_iteratorINSA_8identityIiEENSA_6detail15normal_iteratorINSA_10device_ptrIiEEEESC_SC_EENS0_5tupleIJSM_S6_EEENSO_IJSE_SE_EEES6_PlJS6_EEE10hipError_tPvRmT3_T4_T5_T6_T7_T9_mT8_P12ihipStream_tbDpT10_ENKUlT_T0_E_clISt17integral_constantIbLb0EES1B_EEDaS16_S17_EUlS16_E_NS1_11comp_targetILNS1_3genE2ELNS1_11target_archE906ELNS1_3gpuE6ELNS1_3repE0EEENS1_30default_config_static_selectorELNS0_4arch9wavefront6targetE0EEEvT1_
	.p2align	8
	.type	_ZN7rocprim17ROCPRIM_400000_NS6detail17trampoline_kernelINS0_14default_configENS1_25partition_config_selectorILNS1_17partition_subalgoE5EiNS0_10empty_typeEbEEZZNS1_14partition_implILS5_5ELb0ES3_mN6thrust23THRUST_200600_302600_NS17counting_iteratorIiNSA_11use_defaultESC_SC_EEPS6_NSA_18transform_iteratorINSA_8identityIiEENSA_6detail15normal_iteratorINSA_10device_ptrIiEEEESC_SC_EENS0_5tupleIJSM_S6_EEENSO_IJSE_SE_EEES6_PlJS6_EEE10hipError_tPvRmT3_T4_T5_T6_T7_T9_mT8_P12ihipStream_tbDpT10_ENKUlT_T0_E_clISt17integral_constantIbLb0EES1B_EEDaS16_S17_EUlS16_E_NS1_11comp_targetILNS1_3genE2ELNS1_11target_archE906ELNS1_3gpuE6ELNS1_3repE0EEENS1_30default_config_static_selectorELNS0_4arch9wavefront6targetE0EEEvT1_,@function
_ZN7rocprim17ROCPRIM_400000_NS6detail17trampoline_kernelINS0_14default_configENS1_25partition_config_selectorILNS1_17partition_subalgoE5EiNS0_10empty_typeEbEEZZNS1_14partition_implILS5_5ELb0ES3_mN6thrust23THRUST_200600_302600_NS17counting_iteratorIiNSA_11use_defaultESC_SC_EEPS6_NSA_18transform_iteratorINSA_8identityIiEENSA_6detail15normal_iteratorINSA_10device_ptrIiEEEESC_SC_EENS0_5tupleIJSM_S6_EEENSO_IJSE_SE_EEES6_PlJS6_EEE10hipError_tPvRmT3_T4_T5_T6_T7_T9_mT8_P12ihipStream_tbDpT10_ENKUlT_T0_E_clISt17integral_constantIbLb0EES1B_EEDaS16_S17_EUlS16_E_NS1_11comp_targetILNS1_3genE2ELNS1_11target_archE906ELNS1_3gpuE6ELNS1_3repE0EEENS1_30default_config_static_selectorELNS0_4arch9wavefront6targetE0EEEvT1_: ; @_ZN7rocprim17ROCPRIM_400000_NS6detail17trampoline_kernelINS0_14default_configENS1_25partition_config_selectorILNS1_17partition_subalgoE5EiNS0_10empty_typeEbEEZZNS1_14partition_implILS5_5ELb0ES3_mN6thrust23THRUST_200600_302600_NS17counting_iteratorIiNSA_11use_defaultESC_SC_EEPS6_NSA_18transform_iteratorINSA_8identityIiEENSA_6detail15normal_iteratorINSA_10device_ptrIiEEEESC_SC_EENS0_5tupleIJSM_S6_EEENSO_IJSE_SE_EEES6_PlJS6_EEE10hipError_tPvRmT3_T4_T5_T6_T7_T9_mT8_P12ihipStream_tbDpT10_ENKUlT_T0_E_clISt17integral_constantIbLb0EES1B_EEDaS16_S17_EUlS16_E_NS1_11comp_targetILNS1_3genE2ELNS1_11target_archE906ELNS1_3gpuE6ELNS1_3repE0EEENS1_30default_config_static_selectorELNS0_4arch9wavefront6targetE0EEEvT1_
; %bb.0:
	.section	.rodata,"a",@progbits
	.p2align	6, 0x0
	.amdhsa_kernel _ZN7rocprim17ROCPRIM_400000_NS6detail17trampoline_kernelINS0_14default_configENS1_25partition_config_selectorILNS1_17partition_subalgoE5EiNS0_10empty_typeEbEEZZNS1_14partition_implILS5_5ELb0ES3_mN6thrust23THRUST_200600_302600_NS17counting_iteratorIiNSA_11use_defaultESC_SC_EEPS6_NSA_18transform_iteratorINSA_8identityIiEENSA_6detail15normal_iteratorINSA_10device_ptrIiEEEESC_SC_EENS0_5tupleIJSM_S6_EEENSO_IJSE_SE_EEES6_PlJS6_EEE10hipError_tPvRmT3_T4_T5_T6_T7_T9_mT8_P12ihipStream_tbDpT10_ENKUlT_T0_E_clISt17integral_constantIbLb0EES1B_EEDaS16_S17_EUlS16_E_NS1_11comp_targetILNS1_3genE2ELNS1_11target_archE906ELNS1_3gpuE6ELNS1_3repE0EEENS1_30default_config_static_selectorELNS0_4arch9wavefront6targetE0EEEvT1_
		.amdhsa_group_segment_fixed_size 0
		.amdhsa_private_segment_fixed_size 0
		.amdhsa_kernarg_size 120
		.amdhsa_user_sgpr_count 2
		.amdhsa_user_sgpr_dispatch_ptr 0
		.amdhsa_user_sgpr_queue_ptr 0
		.amdhsa_user_sgpr_kernarg_segment_ptr 1
		.amdhsa_user_sgpr_dispatch_id 0
		.amdhsa_user_sgpr_private_segment_size 0
		.amdhsa_wavefront_size32 1
		.amdhsa_uses_dynamic_stack 0
		.amdhsa_enable_private_segment 0
		.amdhsa_system_sgpr_workgroup_id_x 1
		.amdhsa_system_sgpr_workgroup_id_y 0
		.amdhsa_system_sgpr_workgroup_id_z 0
		.amdhsa_system_sgpr_workgroup_info 0
		.amdhsa_system_vgpr_workitem_id 0
		.amdhsa_next_free_vgpr 1
		.amdhsa_next_free_sgpr 1
		.amdhsa_reserve_vcc 0
		.amdhsa_float_round_mode_32 0
		.amdhsa_float_round_mode_16_64 0
		.amdhsa_float_denorm_mode_32 3
		.amdhsa_float_denorm_mode_16_64 3
		.amdhsa_fp16_overflow 0
		.amdhsa_workgroup_processor_mode 1
		.amdhsa_memory_ordered 1
		.amdhsa_forward_progress 1
		.amdhsa_inst_pref_size 0
		.amdhsa_round_robin_scheduling 0
		.amdhsa_exception_fp_ieee_invalid_op 0
		.amdhsa_exception_fp_denorm_src 0
		.amdhsa_exception_fp_ieee_div_zero 0
		.amdhsa_exception_fp_ieee_overflow 0
		.amdhsa_exception_fp_ieee_underflow 0
		.amdhsa_exception_fp_ieee_inexact 0
		.amdhsa_exception_int_div_zero 0
	.end_amdhsa_kernel
	.section	.text._ZN7rocprim17ROCPRIM_400000_NS6detail17trampoline_kernelINS0_14default_configENS1_25partition_config_selectorILNS1_17partition_subalgoE5EiNS0_10empty_typeEbEEZZNS1_14partition_implILS5_5ELb0ES3_mN6thrust23THRUST_200600_302600_NS17counting_iteratorIiNSA_11use_defaultESC_SC_EEPS6_NSA_18transform_iteratorINSA_8identityIiEENSA_6detail15normal_iteratorINSA_10device_ptrIiEEEESC_SC_EENS0_5tupleIJSM_S6_EEENSO_IJSE_SE_EEES6_PlJS6_EEE10hipError_tPvRmT3_T4_T5_T6_T7_T9_mT8_P12ihipStream_tbDpT10_ENKUlT_T0_E_clISt17integral_constantIbLb0EES1B_EEDaS16_S17_EUlS16_E_NS1_11comp_targetILNS1_3genE2ELNS1_11target_archE906ELNS1_3gpuE6ELNS1_3repE0EEENS1_30default_config_static_selectorELNS0_4arch9wavefront6targetE0EEEvT1_,"axG",@progbits,_ZN7rocprim17ROCPRIM_400000_NS6detail17trampoline_kernelINS0_14default_configENS1_25partition_config_selectorILNS1_17partition_subalgoE5EiNS0_10empty_typeEbEEZZNS1_14partition_implILS5_5ELb0ES3_mN6thrust23THRUST_200600_302600_NS17counting_iteratorIiNSA_11use_defaultESC_SC_EEPS6_NSA_18transform_iteratorINSA_8identityIiEENSA_6detail15normal_iteratorINSA_10device_ptrIiEEEESC_SC_EENS0_5tupleIJSM_S6_EEENSO_IJSE_SE_EEES6_PlJS6_EEE10hipError_tPvRmT3_T4_T5_T6_T7_T9_mT8_P12ihipStream_tbDpT10_ENKUlT_T0_E_clISt17integral_constantIbLb0EES1B_EEDaS16_S17_EUlS16_E_NS1_11comp_targetILNS1_3genE2ELNS1_11target_archE906ELNS1_3gpuE6ELNS1_3repE0EEENS1_30default_config_static_selectorELNS0_4arch9wavefront6targetE0EEEvT1_,comdat
.Lfunc_end6:
	.size	_ZN7rocprim17ROCPRIM_400000_NS6detail17trampoline_kernelINS0_14default_configENS1_25partition_config_selectorILNS1_17partition_subalgoE5EiNS0_10empty_typeEbEEZZNS1_14partition_implILS5_5ELb0ES3_mN6thrust23THRUST_200600_302600_NS17counting_iteratorIiNSA_11use_defaultESC_SC_EEPS6_NSA_18transform_iteratorINSA_8identityIiEENSA_6detail15normal_iteratorINSA_10device_ptrIiEEEESC_SC_EENS0_5tupleIJSM_S6_EEENSO_IJSE_SE_EEES6_PlJS6_EEE10hipError_tPvRmT3_T4_T5_T6_T7_T9_mT8_P12ihipStream_tbDpT10_ENKUlT_T0_E_clISt17integral_constantIbLb0EES1B_EEDaS16_S17_EUlS16_E_NS1_11comp_targetILNS1_3genE2ELNS1_11target_archE906ELNS1_3gpuE6ELNS1_3repE0EEENS1_30default_config_static_selectorELNS0_4arch9wavefront6targetE0EEEvT1_, .Lfunc_end6-_ZN7rocprim17ROCPRIM_400000_NS6detail17trampoline_kernelINS0_14default_configENS1_25partition_config_selectorILNS1_17partition_subalgoE5EiNS0_10empty_typeEbEEZZNS1_14partition_implILS5_5ELb0ES3_mN6thrust23THRUST_200600_302600_NS17counting_iteratorIiNSA_11use_defaultESC_SC_EEPS6_NSA_18transform_iteratorINSA_8identityIiEENSA_6detail15normal_iteratorINSA_10device_ptrIiEEEESC_SC_EENS0_5tupleIJSM_S6_EEENSO_IJSE_SE_EEES6_PlJS6_EEE10hipError_tPvRmT3_T4_T5_T6_T7_T9_mT8_P12ihipStream_tbDpT10_ENKUlT_T0_E_clISt17integral_constantIbLb0EES1B_EEDaS16_S17_EUlS16_E_NS1_11comp_targetILNS1_3genE2ELNS1_11target_archE906ELNS1_3gpuE6ELNS1_3repE0EEENS1_30default_config_static_selectorELNS0_4arch9wavefront6targetE0EEEvT1_
                                        ; -- End function
	.set _ZN7rocprim17ROCPRIM_400000_NS6detail17trampoline_kernelINS0_14default_configENS1_25partition_config_selectorILNS1_17partition_subalgoE5EiNS0_10empty_typeEbEEZZNS1_14partition_implILS5_5ELb0ES3_mN6thrust23THRUST_200600_302600_NS17counting_iteratorIiNSA_11use_defaultESC_SC_EEPS6_NSA_18transform_iteratorINSA_8identityIiEENSA_6detail15normal_iteratorINSA_10device_ptrIiEEEESC_SC_EENS0_5tupleIJSM_S6_EEENSO_IJSE_SE_EEES6_PlJS6_EEE10hipError_tPvRmT3_T4_T5_T6_T7_T9_mT8_P12ihipStream_tbDpT10_ENKUlT_T0_E_clISt17integral_constantIbLb0EES1B_EEDaS16_S17_EUlS16_E_NS1_11comp_targetILNS1_3genE2ELNS1_11target_archE906ELNS1_3gpuE6ELNS1_3repE0EEENS1_30default_config_static_selectorELNS0_4arch9wavefront6targetE0EEEvT1_.num_vgpr, 0
	.set _ZN7rocprim17ROCPRIM_400000_NS6detail17trampoline_kernelINS0_14default_configENS1_25partition_config_selectorILNS1_17partition_subalgoE5EiNS0_10empty_typeEbEEZZNS1_14partition_implILS5_5ELb0ES3_mN6thrust23THRUST_200600_302600_NS17counting_iteratorIiNSA_11use_defaultESC_SC_EEPS6_NSA_18transform_iteratorINSA_8identityIiEENSA_6detail15normal_iteratorINSA_10device_ptrIiEEEESC_SC_EENS0_5tupleIJSM_S6_EEENSO_IJSE_SE_EEES6_PlJS6_EEE10hipError_tPvRmT3_T4_T5_T6_T7_T9_mT8_P12ihipStream_tbDpT10_ENKUlT_T0_E_clISt17integral_constantIbLb0EES1B_EEDaS16_S17_EUlS16_E_NS1_11comp_targetILNS1_3genE2ELNS1_11target_archE906ELNS1_3gpuE6ELNS1_3repE0EEENS1_30default_config_static_selectorELNS0_4arch9wavefront6targetE0EEEvT1_.num_agpr, 0
	.set _ZN7rocprim17ROCPRIM_400000_NS6detail17trampoline_kernelINS0_14default_configENS1_25partition_config_selectorILNS1_17partition_subalgoE5EiNS0_10empty_typeEbEEZZNS1_14partition_implILS5_5ELb0ES3_mN6thrust23THRUST_200600_302600_NS17counting_iteratorIiNSA_11use_defaultESC_SC_EEPS6_NSA_18transform_iteratorINSA_8identityIiEENSA_6detail15normal_iteratorINSA_10device_ptrIiEEEESC_SC_EENS0_5tupleIJSM_S6_EEENSO_IJSE_SE_EEES6_PlJS6_EEE10hipError_tPvRmT3_T4_T5_T6_T7_T9_mT8_P12ihipStream_tbDpT10_ENKUlT_T0_E_clISt17integral_constantIbLb0EES1B_EEDaS16_S17_EUlS16_E_NS1_11comp_targetILNS1_3genE2ELNS1_11target_archE906ELNS1_3gpuE6ELNS1_3repE0EEENS1_30default_config_static_selectorELNS0_4arch9wavefront6targetE0EEEvT1_.numbered_sgpr, 0
	.set _ZN7rocprim17ROCPRIM_400000_NS6detail17trampoline_kernelINS0_14default_configENS1_25partition_config_selectorILNS1_17partition_subalgoE5EiNS0_10empty_typeEbEEZZNS1_14partition_implILS5_5ELb0ES3_mN6thrust23THRUST_200600_302600_NS17counting_iteratorIiNSA_11use_defaultESC_SC_EEPS6_NSA_18transform_iteratorINSA_8identityIiEENSA_6detail15normal_iteratorINSA_10device_ptrIiEEEESC_SC_EENS0_5tupleIJSM_S6_EEENSO_IJSE_SE_EEES6_PlJS6_EEE10hipError_tPvRmT3_T4_T5_T6_T7_T9_mT8_P12ihipStream_tbDpT10_ENKUlT_T0_E_clISt17integral_constantIbLb0EES1B_EEDaS16_S17_EUlS16_E_NS1_11comp_targetILNS1_3genE2ELNS1_11target_archE906ELNS1_3gpuE6ELNS1_3repE0EEENS1_30default_config_static_selectorELNS0_4arch9wavefront6targetE0EEEvT1_.num_named_barrier, 0
	.set _ZN7rocprim17ROCPRIM_400000_NS6detail17trampoline_kernelINS0_14default_configENS1_25partition_config_selectorILNS1_17partition_subalgoE5EiNS0_10empty_typeEbEEZZNS1_14partition_implILS5_5ELb0ES3_mN6thrust23THRUST_200600_302600_NS17counting_iteratorIiNSA_11use_defaultESC_SC_EEPS6_NSA_18transform_iteratorINSA_8identityIiEENSA_6detail15normal_iteratorINSA_10device_ptrIiEEEESC_SC_EENS0_5tupleIJSM_S6_EEENSO_IJSE_SE_EEES6_PlJS6_EEE10hipError_tPvRmT3_T4_T5_T6_T7_T9_mT8_P12ihipStream_tbDpT10_ENKUlT_T0_E_clISt17integral_constantIbLb0EES1B_EEDaS16_S17_EUlS16_E_NS1_11comp_targetILNS1_3genE2ELNS1_11target_archE906ELNS1_3gpuE6ELNS1_3repE0EEENS1_30default_config_static_selectorELNS0_4arch9wavefront6targetE0EEEvT1_.private_seg_size, 0
	.set _ZN7rocprim17ROCPRIM_400000_NS6detail17trampoline_kernelINS0_14default_configENS1_25partition_config_selectorILNS1_17partition_subalgoE5EiNS0_10empty_typeEbEEZZNS1_14partition_implILS5_5ELb0ES3_mN6thrust23THRUST_200600_302600_NS17counting_iteratorIiNSA_11use_defaultESC_SC_EEPS6_NSA_18transform_iteratorINSA_8identityIiEENSA_6detail15normal_iteratorINSA_10device_ptrIiEEEESC_SC_EENS0_5tupleIJSM_S6_EEENSO_IJSE_SE_EEES6_PlJS6_EEE10hipError_tPvRmT3_T4_T5_T6_T7_T9_mT8_P12ihipStream_tbDpT10_ENKUlT_T0_E_clISt17integral_constantIbLb0EES1B_EEDaS16_S17_EUlS16_E_NS1_11comp_targetILNS1_3genE2ELNS1_11target_archE906ELNS1_3gpuE6ELNS1_3repE0EEENS1_30default_config_static_selectorELNS0_4arch9wavefront6targetE0EEEvT1_.uses_vcc, 0
	.set _ZN7rocprim17ROCPRIM_400000_NS6detail17trampoline_kernelINS0_14default_configENS1_25partition_config_selectorILNS1_17partition_subalgoE5EiNS0_10empty_typeEbEEZZNS1_14partition_implILS5_5ELb0ES3_mN6thrust23THRUST_200600_302600_NS17counting_iteratorIiNSA_11use_defaultESC_SC_EEPS6_NSA_18transform_iteratorINSA_8identityIiEENSA_6detail15normal_iteratorINSA_10device_ptrIiEEEESC_SC_EENS0_5tupleIJSM_S6_EEENSO_IJSE_SE_EEES6_PlJS6_EEE10hipError_tPvRmT3_T4_T5_T6_T7_T9_mT8_P12ihipStream_tbDpT10_ENKUlT_T0_E_clISt17integral_constantIbLb0EES1B_EEDaS16_S17_EUlS16_E_NS1_11comp_targetILNS1_3genE2ELNS1_11target_archE906ELNS1_3gpuE6ELNS1_3repE0EEENS1_30default_config_static_selectorELNS0_4arch9wavefront6targetE0EEEvT1_.uses_flat_scratch, 0
	.set _ZN7rocprim17ROCPRIM_400000_NS6detail17trampoline_kernelINS0_14default_configENS1_25partition_config_selectorILNS1_17partition_subalgoE5EiNS0_10empty_typeEbEEZZNS1_14partition_implILS5_5ELb0ES3_mN6thrust23THRUST_200600_302600_NS17counting_iteratorIiNSA_11use_defaultESC_SC_EEPS6_NSA_18transform_iteratorINSA_8identityIiEENSA_6detail15normal_iteratorINSA_10device_ptrIiEEEESC_SC_EENS0_5tupleIJSM_S6_EEENSO_IJSE_SE_EEES6_PlJS6_EEE10hipError_tPvRmT3_T4_T5_T6_T7_T9_mT8_P12ihipStream_tbDpT10_ENKUlT_T0_E_clISt17integral_constantIbLb0EES1B_EEDaS16_S17_EUlS16_E_NS1_11comp_targetILNS1_3genE2ELNS1_11target_archE906ELNS1_3gpuE6ELNS1_3repE0EEENS1_30default_config_static_selectorELNS0_4arch9wavefront6targetE0EEEvT1_.has_dyn_sized_stack, 0
	.set _ZN7rocprim17ROCPRIM_400000_NS6detail17trampoline_kernelINS0_14default_configENS1_25partition_config_selectorILNS1_17partition_subalgoE5EiNS0_10empty_typeEbEEZZNS1_14partition_implILS5_5ELb0ES3_mN6thrust23THRUST_200600_302600_NS17counting_iteratorIiNSA_11use_defaultESC_SC_EEPS6_NSA_18transform_iteratorINSA_8identityIiEENSA_6detail15normal_iteratorINSA_10device_ptrIiEEEESC_SC_EENS0_5tupleIJSM_S6_EEENSO_IJSE_SE_EEES6_PlJS6_EEE10hipError_tPvRmT3_T4_T5_T6_T7_T9_mT8_P12ihipStream_tbDpT10_ENKUlT_T0_E_clISt17integral_constantIbLb0EES1B_EEDaS16_S17_EUlS16_E_NS1_11comp_targetILNS1_3genE2ELNS1_11target_archE906ELNS1_3gpuE6ELNS1_3repE0EEENS1_30default_config_static_selectorELNS0_4arch9wavefront6targetE0EEEvT1_.has_recursion, 0
	.set _ZN7rocprim17ROCPRIM_400000_NS6detail17trampoline_kernelINS0_14default_configENS1_25partition_config_selectorILNS1_17partition_subalgoE5EiNS0_10empty_typeEbEEZZNS1_14partition_implILS5_5ELb0ES3_mN6thrust23THRUST_200600_302600_NS17counting_iteratorIiNSA_11use_defaultESC_SC_EEPS6_NSA_18transform_iteratorINSA_8identityIiEENSA_6detail15normal_iteratorINSA_10device_ptrIiEEEESC_SC_EENS0_5tupleIJSM_S6_EEENSO_IJSE_SE_EEES6_PlJS6_EEE10hipError_tPvRmT3_T4_T5_T6_T7_T9_mT8_P12ihipStream_tbDpT10_ENKUlT_T0_E_clISt17integral_constantIbLb0EES1B_EEDaS16_S17_EUlS16_E_NS1_11comp_targetILNS1_3genE2ELNS1_11target_archE906ELNS1_3gpuE6ELNS1_3repE0EEENS1_30default_config_static_selectorELNS0_4arch9wavefront6targetE0EEEvT1_.has_indirect_call, 0
	.section	.AMDGPU.csdata,"",@progbits
; Kernel info:
; codeLenInByte = 0
; TotalNumSgprs: 0
; NumVgprs: 0
; ScratchSize: 0
; MemoryBound: 0
; FloatMode: 240
; IeeeMode: 1
; LDSByteSize: 0 bytes/workgroup (compile time only)
; SGPRBlocks: 0
; VGPRBlocks: 0
; NumSGPRsForWavesPerEU: 1
; NumVGPRsForWavesPerEU: 1
; Occupancy: 16
; WaveLimiterHint : 0
; COMPUTE_PGM_RSRC2:SCRATCH_EN: 0
; COMPUTE_PGM_RSRC2:USER_SGPR: 2
; COMPUTE_PGM_RSRC2:TRAP_HANDLER: 0
; COMPUTE_PGM_RSRC2:TGID_X_EN: 1
; COMPUTE_PGM_RSRC2:TGID_Y_EN: 0
; COMPUTE_PGM_RSRC2:TGID_Z_EN: 0
; COMPUTE_PGM_RSRC2:TIDIG_COMP_CNT: 0
	.section	.text._ZN7rocprim17ROCPRIM_400000_NS6detail17trampoline_kernelINS0_14default_configENS1_25partition_config_selectorILNS1_17partition_subalgoE5EiNS0_10empty_typeEbEEZZNS1_14partition_implILS5_5ELb0ES3_mN6thrust23THRUST_200600_302600_NS17counting_iteratorIiNSA_11use_defaultESC_SC_EEPS6_NSA_18transform_iteratorINSA_8identityIiEENSA_6detail15normal_iteratorINSA_10device_ptrIiEEEESC_SC_EENS0_5tupleIJSM_S6_EEENSO_IJSE_SE_EEES6_PlJS6_EEE10hipError_tPvRmT3_T4_T5_T6_T7_T9_mT8_P12ihipStream_tbDpT10_ENKUlT_T0_E_clISt17integral_constantIbLb0EES1B_EEDaS16_S17_EUlS16_E_NS1_11comp_targetILNS1_3genE10ELNS1_11target_archE1200ELNS1_3gpuE4ELNS1_3repE0EEENS1_30default_config_static_selectorELNS0_4arch9wavefront6targetE0EEEvT1_,"axG",@progbits,_ZN7rocprim17ROCPRIM_400000_NS6detail17trampoline_kernelINS0_14default_configENS1_25partition_config_selectorILNS1_17partition_subalgoE5EiNS0_10empty_typeEbEEZZNS1_14partition_implILS5_5ELb0ES3_mN6thrust23THRUST_200600_302600_NS17counting_iteratorIiNSA_11use_defaultESC_SC_EEPS6_NSA_18transform_iteratorINSA_8identityIiEENSA_6detail15normal_iteratorINSA_10device_ptrIiEEEESC_SC_EENS0_5tupleIJSM_S6_EEENSO_IJSE_SE_EEES6_PlJS6_EEE10hipError_tPvRmT3_T4_T5_T6_T7_T9_mT8_P12ihipStream_tbDpT10_ENKUlT_T0_E_clISt17integral_constantIbLb0EES1B_EEDaS16_S17_EUlS16_E_NS1_11comp_targetILNS1_3genE10ELNS1_11target_archE1200ELNS1_3gpuE4ELNS1_3repE0EEENS1_30default_config_static_selectorELNS0_4arch9wavefront6targetE0EEEvT1_,comdat
	.protected	_ZN7rocprim17ROCPRIM_400000_NS6detail17trampoline_kernelINS0_14default_configENS1_25partition_config_selectorILNS1_17partition_subalgoE5EiNS0_10empty_typeEbEEZZNS1_14partition_implILS5_5ELb0ES3_mN6thrust23THRUST_200600_302600_NS17counting_iteratorIiNSA_11use_defaultESC_SC_EEPS6_NSA_18transform_iteratorINSA_8identityIiEENSA_6detail15normal_iteratorINSA_10device_ptrIiEEEESC_SC_EENS0_5tupleIJSM_S6_EEENSO_IJSE_SE_EEES6_PlJS6_EEE10hipError_tPvRmT3_T4_T5_T6_T7_T9_mT8_P12ihipStream_tbDpT10_ENKUlT_T0_E_clISt17integral_constantIbLb0EES1B_EEDaS16_S17_EUlS16_E_NS1_11comp_targetILNS1_3genE10ELNS1_11target_archE1200ELNS1_3gpuE4ELNS1_3repE0EEENS1_30default_config_static_selectorELNS0_4arch9wavefront6targetE0EEEvT1_ ; -- Begin function _ZN7rocprim17ROCPRIM_400000_NS6detail17trampoline_kernelINS0_14default_configENS1_25partition_config_selectorILNS1_17partition_subalgoE5EiNS0_10empty_typeEbEEZZNS1_14partition_implILS5_5ELb0ES3_mN6thrust23THRUST_200600_302600_NS17counting_iteratorIiNSA_11use_defaultESC_SC_EEPS6_NSA_18transform_iteratorINSA_8identityIiEENSA_6detail15normal_iteratorINSA_10device_ptrIiEEEESC_SC_EENS0_5tupleIJSM_S6_EEENSO_IJSE_SE_EEES6_PlJS6_EEE10hipError_tPvRmT3_T4_T5_T6_T7_T9_mT8_P12ihipStream_tbDpT10_ENKUlT_T0_E_clISt17integral_constantIbLb0EES1B_EEDaS16_S17_EUlS16_E_NS1_11comp_targetILNS1_3genE10ELNS1_11target_archE1200ELNS1_3gpuE4ELNS1_3repE0EEENS1_30default_config_static_selectorELNS0_4arch9wavefront6targetE0EEEvT1_
	.globl	_ZN7rocprim17ROCPRIM_400000_NS6detail17trampoline_kernelINS0_14default_configENS1_25partition_config_selectorILNS1_17partition_subalgoE5EiNS0_10empty_typeEbEEZZNS1_14partition_implILS5_5ELb0ES3_mN6thrust23THRUST_200600_302600_NS17counting_iteratorIiNSA_11use_defaultESC_SC_EEPS6_NSA_18transform_iteratorINSA_8identityIiEENSA_6detail15normal_iteratorINSA_10device_ptrIiEEEESC_SC_EENS0_5tupleIJSM_S6_EEENSO_IJSE_SE_EEES6_PlJS6_EEE10hipError_tPvRmT3_T4_T5_T6_T7_T9_mT8_P12ihipStream_tbDpT10_ENKUlT_T0_E_clISt17integral_constantIbLb0EES1B_EEDaS16_S17_EUlS16_E_NS1_11comp_targetILNS1_3genE10ELNS1_11target_archE1200ELNS1_3gpuE4ELNS1_3repE0EEENS1_30default_config_static_selectorELNS0_4arch9wavefront6targetE0EEEvT1_
	.p2align	8
	.type	_ZN7rocprim17ROCPRIM_400000_NS6detail17trampoline_kernelINS0_14default_configENS1_25partition_config_selectorILNS1_17partition_subalgoE5EiNS0_10empty_typeEbEEZZNS1_14partition_implILS5_5ELb0ES3_mN6thrust23THRUST_200600_302600_NS17counting_iteratorIiNSA_11use_defaultESC_SC_EEPS6_NSA_18transform_iteratorINSA_8identityIiEENSA_6detail15normal_iteratorINSA_10device_ptrIiEEEESC_SC_EENS0_5tupleIJSM_S6_EEENSO_IJSE_SE_EEES6_PlJS6_EEE10hipError_tPvRmT3_T4_T5_T6_T7_T9_mT8_P12ihipStream_tbDpT10_ENKUlT_T0_E_clISt17integral_constantIbLb0EES1B_EEDaS16_S17_EUlS16_E_NS1_11comp_targetILNS1_3genE10ELNS1_11target_archE1200ELNS1_3gpuE4ELNS1_3repE0EEENS1_30default_config_static_selectorELNS0_4arch9wavefront6targetE0EEEvT1_,@function
_ZN7rocprim17ROCPRIM_400000_NS6detail17trampoline_kernelINS0_14default_configENS1_25partition_config_selectorILNS1_17partition_subalgoE5EiNS0_10empty_typeEbEEZZNS1_14partition_implILS5_5ELb0ES3_mN6thrust23THRUST_200600_302600_NS17counting_iteratorIiNSA_11use_defaultESC_SC_EEPS6_NSA_18transform_iteratorINSA_8identityIiEENSA_6detail15normal_iteratorINSA_10device_ptrIiEEEESC_SC_EENS0_5tupleIJSM_S6_EEENSO_IJSE_SE_EEES6_PlJS6_EEE10hipError_tPvRmT3_T4_T5_T6_T7_T9_mT8_P12ihipStream_tbDpT10_ENKUlT_T0_E_clISt17integral_constantIbLb0EES1B_EEDaS16_S17_EUlS16_E_NS1_11comp_targetILNS1_3genE10ELNS1_11target_archE1200ELNS1_3gpuE4ELNS1_3repE0EEENS1_30default_config_static_selectorELNS0_4arch9wavefront6targetE0EEEvT1_: ; @_ZN7rocprim17ROCPRIM_400000_NS6detail17trampoline_kernelINS0_14default_configENS1_25partition_config_selectorILNS1_17partition_subalgoE5EiNS0_10empty_typeEbEEZZNS1_14partition_implILS5_5ELb0ES3_mN6thrust23THRUST_200600_302600_NS17counting_iteratorIiNSA_11use_defaultESC_SC_EEPS6_NSA_18transform_iteratorINSA_8identityIiEENSA_6detail15normal_iteratorINSA_10device_ptrIiEEEESC_SC_EENS0_5tupleIJSM_S6_EEENSO_IJSE_SE_EEES6_PlJS6_EEE10hipError_tPvRmT3_T4_T5_T6_T7_T9_mT8_P12ihipStream_tbDpT10_ENKUlT_T0_E_clISt17integral_constantIbLb0EES1B_EEDaS16_S17_EUlS16_E_NS1_11comp_targetILNS1_3genE10ELNS1_11target_archE1200ELNS1_3gpuE4ELNS1_3repE0EEENS1_30default_config_static_selectorELNS0_4arch9wavefront6targetE0EEEvT1_
; %bb.0:
	s_clause 0x4
	s_load_b128 s[8:11], s[0:1], 0x48
	s_load_b32 s5, s[0:1], 0x70
	s_load_b64 s[12:13], s[0:1], 0x10
	s_load_b64 s[2:3], s[0:1], 0x58
	s_load_b32 s17, s[0:1], 0x8
	s_mov_b32 s15, 0
	s_mul_i32 s4, ttmp9, 0x600
	v_lshrrev_b32_e32 v8, 3, v0
	v_lshlrev_b32_e32 v7, 2, v0
	v_add_nc_u32_e32 v6, 0x180, v0
	v_add_nc_u32_e32 v5, 0x240, v0
	v_or_b32_e32 v3, 0x300, v0
	v_add_nc_u32_e32 v1, 0x3c0, v0
	v_add_nc_u32_e32 v2, 0x480, v0
	;; [unrolled: 1-line block ×3, first 2 shown]
	s_wait_kmcnt 0x0
	s_load_b64 s[6:7], s[10:11], 0x0
	s_mul_i32 s14, s5, 0x600
	s_add_co_i32 s5, s5, -1
	s_add_co_i32 s16, s14, s12
	s_add_nc_u64 s[10:11], s[12:13], s[14:15]
	s_sub_co_i32 s16, s2, s16
	v_cmp_le_u64_e64 s2, s[2:3], s[10:11]
	s_addk_co_i32 s16, 0x600
	s_cmp_eq_u32 ttmp9, s5
	s_mov_b32 s5, -1
	s_cselect_b32 s14, -1, 0
	s_add_co_i32 s3, s17, s4
	s_and_b32 s2, s14, s2
	s_wait_alu 0xfffe
	s_add_co_i32 s3, s3, s12
	s_xor_b32 s15, s2, -1
	s_wait_alu 0xfffe
	v_add_nc_u32_e32 v9, s3, v0
	s_and_b32 vcc_lo, exec_lo, s15
	s_cbranch_vccz .LBB7_2
; %bb.1:
	v_add_nc_u32_e32 v10, 0xc0, v0
	v_lshrrev_b32_e32 v14, 3, v6
	v_lshrrev_b32_e32 v20, 3, v5
	;; [unrolled: 1-line block ×3, first 2 shown]
	v_and_b32_e32 v17, 28, v8
	v_lshrrev_b32_e32 v10, 3, v10
	v_lshrrev_b32_e32 v22, 3, v1
	;; [unrolled: 1-line block ×4, first 2 shown]
	v_and_b32_e32 v14, 0x7c, v14
	v_and_b32_e32 v10, 60, v10
	v_and_b32_e32 v20, 0x7c, v20
	v_and_b32_e32 v21, 0x7c, v21
	v_add_nc_u32_e32 v17, v17, v7
	v_and_b32_e32 v22, 0xfc, v22
	v_and_b32_e32 v23, 0xbc, v23
	;; [unrolled: 1-line block ×3, first 2 shown]
	v_add_nc_u32_e32 v11, 0xc0, v9
	v_add_nc_u32_e32 v10, v10, v7
	;; [unrolled: 1-line block ×14, first 2 shown]
	ds_store_b32 v17, v9
	ds_store_b32 v10, v11 offset:768
	ds_store_b32 v14, v12 offset:1536
	;; [unrolled: 1-line block ×7, first 2 shown]
	s_wait_dscnt 0x0
	s_barrier_signal -1
	s_mov_b32 s5, 0
	s_barrier_wait -1
.LBB7_2:
	s_load_b64 s[10:11], s[0:1], 0x20
	v_cmp_gt_u32_e64 s2, s16, v0
	s_and_not1_b32 vcc_lo, exec_lo, s5
	s_cbranch_vccnz .LBB7_4
; %bb.3:
	v_cmp_gt_u32_e32 vcc_lo, s16, v6
	v_add_nc_u32_e32 v15, s3, v1
	v_add_nc_u32_e32 v12, s3, v5
	;; [unrolled: 1-line block ×5, first 2 shown]
	v_lshrrev_b32_e32 v17, 3, v6
	v_lshrrev_b32_e32 v19, 3, v5
	v_cndmask_b32_e32 v11, 0, v11, vcc_lo
	v_add_nc_u32_e32 v13, s3, v10
	v_cmp_gt_u32_e32 vcc_lo, s16, v10
	v_add_nc_u32_e32 v14, s3, v3
	v_lshrrev_b32_e32 v10, 3, v10
	v_lshrrev_b32_e32 v20, 3, v3
	s_wait_alu 0xfffd
	v_dual_cndmask_b32 v13, 0, v13 :: v_dual_and_b32 v8, 28, v8
	v_cmp_gt_u32_e32 vcc_lo, s16, v5
	v_lshrrev_b32_e32 v21, 3, v1
	v_lshrrev_b32_e32 v22, 3, v2
	;; [unrolled: 1-line block ×3, first 2 shown]
	v_and_b32_e32 v10, 60, v10
	s_wait_alu 0xfffd
	v_cndmask_b32_e32 v12, 0, v12, vcc_lo
	v_cmp_gt_u32_e32 vcc_lo, s16, v3
	v_add_nc_u32_e32 v18, s3, v4
	v_and_b32_e32 v19, 0x7c, v19
	v_and_b32_e32 v20, 0x7c, v20
	s_wait_alu 0xf1ff
	v_cndmask_b32_e64 v9, 0, v9, s2
	s_wait_alu 0xfffd
	v_cndmask_b32_e32 v14, 0, v14, vcc_lo
	v_cmp_gt_u32_e32 vcc_lo, s16, v1
	v_add_nc_u32_e32 v8, v8, v7
	v_and_b32_e32 v21, 0xfc, v21
	v_and_b32_e32 v22, 0xbc, v22
	;; [unrolled: 1-line block ×3, first 2 shown]
	s_wait_alu 0xfffd
	v_cndmask_b32_e32 v15, 0, v15, vcc_lo
	v_cmp_gt_u32_e32 vcc_lo, s16, v2
	v_add_nc_u32_e32 v10, v10, v7
	v_add_nc_u32_e32 v19, v19, v7
	;; [unrolled: 1-line block ×3, first 2 shown]
	s_wait_alu 0xfffd
	v_dual_cndmask_b32 v16, 0, v16 :: v_dual_add_nc_u32 v21, v21, v7
	v_cmp_gt_u32_e32 vcc_lo, s16, v4
	v_and_b32_e32 v17, 0x7c, v17
	v_add_nc_u32_e32 v22, v22, v7
	s_wait_alu 0xfffd
	v_dual_cndmask_b32 v18, 0, v18 :: v_dual_add_nc_u32 v23, v23, v7
	s_delay_alu instid0(VALU_DEP_3)
	v_add_nc_u32_e32 v17, v17, v7
	ds_store_b32 v8, v9
	ds_store_b32 v10, v13 offset:768
	ds_store_b32 v17, v11 offset:1536
	;; [unrolled: 1-line block ×7, first 2 shown]
	s_wait_dscnt 0x0
	s_barrier_signal -1
	s_barrier_wait -1
.LBB7_4:
	v_and_b32_e32 v8, 0xfc, v0
	global_inv scope:SCOPE_SE
	s_lshl_b64 s[2:3], s[12:13], 2
	s_mov_b32 s5, 0
	v_lshrrev_b32_e32 v35, 5, v0
	v_lshl_add_u32 v8, v0, 5, v8
	s_wait_kmcnt 0x0
	s_wait_alu 0xfffe
	s_add_nc_u64 s[2:3], s[10:11], s[2:3]
	s_lshl_b64 s[4:5], s[4:5], 2
	s_and_b32 vcc_lo, exec_lo, s15
	s_wait_alu 0xfffe
	s_add_nc_u64 s[2:3], s[2:3], s[4:5]
	ds_load_2addr_b32 v[15:16], v8 offset1:1
	ds_load_2addr_b32 v[13:14], v8 offset0:2 offset1:3
	ds_load_2addr_b32 v[11:12], v8 offset0:4 offset1:5
	;; [unrolled: 1-line block ×3, first 2 shown]
	s_mov_b32 s4, -1
	s_wait_loadcnt_dscnt 0x0
	s_barrier_signal -1
	s_barrier_wait -1
	global_inv scope:SCOPE_SE
	s_cbranch_vccz .LBB7_6
; %bb.5:
	s_clause 0x7
	global_load_b32 v8, v7, s[2:3]
	global_load_b32 v17, v7, s[2:3] offset:768
	global_load_b32 v18, v7, s[2:3] offset:1536
	;; [unrolled: 1-line block ×7, first 2 shown]
	v_add_nc_u32_e32 v25, 0xc0, v0
	v_lshrrev_b32_e32 v26, 5, v6
	v_lshrrev_b32_e32 v27, 5, v5
	;; [unrolled: 1-line block ×3, first 2 shown]
	v_and_b32_e32 v24, 4, v35
	v_lshrrev_b32_e32 v25, 5, v25
	v_lshrrev_b32_e32 v29, 5, v1
	;; [unrolled: 1-line block ×4, first 2 shown]
	v_and_b32_e32 v26, 28, v26
	v_and_b32_e32 v25, 12, v25
	;; [unrolled: 1-line block ×4, first 2 shown]
	v_add_nc_u32_e32 v24, v24, v0
	v_and_b32_e32 v29, 60, v29
	v_and_b32_e32 v30, 44, v30
	;; [unrolled: 1-line block ×3, first 2 shown]
	v_add_nc_u32_e32 v25, v25, v0
	v_add_nc_u32_e32 v26, v26, v0
	;; [unrolled: 1-line block ×4, first 2 shown]
	s_mov_b32 s4, 0
	v_add_nc_u32_e32 v29, v29, v0
	v_add_nc_u32_e32 v30, v30, v0
	;; [unrolled: 1-line block ×3, first 2 shown]
	s_wait_loadcnt 0x7
	v_cmp_ne_u32_e32 vcc_lo, 0, v8
	s_wait_alu 0xfffd
	v_cndmask_b32_e64 v8, 0, 1, vcc_lo
	s_wait_loadcnt 0x6
	v_cmp_ne_u32_e32 vcc_lo, 0, v17
	s_wait_alu 0xfffd
	v_cndmask_b32_e64 v17, 0, 1, vcc_lo
	;; [unrolled: 4-line block ×8, first 2 shown]
	ds_store_b8 v24, v8
	ds_store_b8 v25, v17 offset:192
	ds_store_b8 v26, v18 offset:384
	;; [unrolled: 1-line block ×7, first 2 shown]
	s_wait_dscnt 0x0
	s_barrier_signal -1
	s_barrier_wait -1
.LBB7_6:
	v_lshlrev_b32_e32 v38, 3, v0
	v_lshrrev_b32_e32 v8, 2, v0
	s_and_not1_b32 vcc_lo, exec_lo, s4
	s_wait_alu 0xfffe
	s_cbranch_vccnz .LBB7_18
; %bb.7:
	v_mov_b32_e32 v17, 0
	s_mov_b32 s5, 0
	s_mov_b32 s4, exec_lo
	s_delay_alu instid0(VALU_DEP_1)
	v_dual_mov_b32 v18, v17 :: v_dual_mov_b32 v19, v17
	v_cmpx_gt_u32_e64 s16, v0
	s_cbranch_execz .LBB7_9
; %bb.8:
	global_load_b32 v17, v7, s[2:3]
	s_wait_loadcnt 0x0
	v_cmp_ne_u32_e32 vcc_lo, 0, v17
	s_wait_alu 0xfffd
	v_cndmask_b32_e64 v17, 0, 1, vcc_lo
	s_delay_alu instid0(VALU_DEP_1)
	v_dual_mov_b32 v18, s5 :: v_dual_mov_b32 v19, v17
.LBB7_9:
	s_or_b32 exec_lo, exec_lo, s4
	v_add_nc_u32_e32 v20, 0xc0, v0
	s_mov_b32 s4, exec_lo
	s_delay_alu instid0(VALU_DEP_1)
	v_cmpx_gt_u32_e64 s16, v20
	s_cbranch_execnz .LBB7_148
; %bb.10:
	s_wait_alu 0xfffe
	s_or_b32 exec_lo, exec_lo, s4
	s_delay_alu instid0(SALU_CYCLE_1)
	s_mov_b32 s4, exec_lo
	v_cmpx_gt_u32_e64 s16, v6
	s_cbranch_execnz .LBB7_149
.LBB7_11:
	s_wait_alu 0xfffe
	s_or_b32 exec_lo, exec_lo, s4
	s_delay_alu instid0(SALU_CYCLE_1)
	s_mov_b32 s4, exec_lo
	v_cmpx_gt_u32_e64 s16, v5
	s_cbranch_execnz .LBB7_150
.LBB7_12:
	s_wait_alu 0xfffe
	s_or_b32 exec_lo, exec_lo, s4
	s_delay_alu instid0(SALU_CYCLE_1)
	s_mov_b32 s4, exec_lo
	v_cmpx_gt_u32_e64 s16, v3
	s_cbranch_execnz .LBB7_151
.LBB7_13:
	s_wait_alu 0xfffe
	s_or_b32 exec_lo, exec_lo, s4
	s_delay_alu instid0(SALU_CYCLE_1)
	s_mov_b32 s4, exec_lo
	v_cmpx_gt_u32_e64 s16, v1
	s_cbranch_execnz .LBB7_152
.LBB7_14:
	s_wait_alu 0xfffe
	s_or_b32 exec_lo, exec_lo, s4
	s_delay_alu instid0(SALU_CYCLE_1)
	s_mov_b32 s4, exec_lo
	v_cmpx_gt_u32_e64 s16, v2
	s_cbranch_execnz .LBB7_153
.LBB7_15:
	s_wait_alu 0xfffe
	s_or_b32 exec_lo, exec_lo, s4
	s_delay_alu instid0(SALU_CYCLE_1)
	s_mov_b32 s4, exec_lo
	v_cmpx_gt_u32_e64 s16, v4
	s_cbranch_execz .LBB7_17
.LBB7_16:
	global_load_b32 v7, v7, s[2:3] offset:5376
	v_lshrrev_b32_e32 v21, 16, v18
	s_delay_alu instid0(VALU_DEP_1) | instskip(SKIP_4) | instid1(VALU_DEP_1)
	v_and_b32_e32 v21, 0xff, v21
	s_wait_loadcnt 0x0
	v_cmp_ne_u32_e32 vcc_lo, 0, v7
	s_wait_alu 0xfffd
	v_cndmask_b32_e64 v7, 0, 1, vcc_lo
	v_lshlrev_b16 v7, 8, v7
	s_delay_alu instid0(VALU_DEP_1) | instskip(NEXT) | instid1(VALU_DEP_1)
	v_or_b32_e32 v7, v21, v7
	v_lshlrev_b32_e32 v7, 16, v7
	s_delay_alu instid0(VALU_DEP_1)
	v_and_or_b32 v18, 0xffff, v18, v7
.LBB7_17:
	s_wait_alu 0xfffe
	s_or_b32 exec_lo, exec_lo, s4
	v_lshrrev_b32_e32 v7, 5, v20
	v_lshrrev_b32_e32 v6, 5, v6
	v_lshrrev_b32_e32 v5, 5, v5
	v_lshrrev_b32_e32 v3, 5, v3
	v_and_b32_e32 v20, 4, v35
	v_lshrrev_b32_e32 v1, 5, v1
	v_lshrrev_b32_e32 v2, 5, v2
	;; [unrolled: 1-line block ×3, first 2 shown]
	v_and_b32_e32 v7, 12, v7
	v_and_b32_e32 v6, 28, v6
	;; [unrolled: 1-line block ×4, first 2 shown]
	v_add_nc_u32_e32 v20, v20, v0
	v_and_b32_e32 v1, 60, v1
	v_and_b32_e32 v2, 60, v2
	;; [unrolled: 1-line block ×3, first 2 shown]
	v_lshrrev_b32_e32 v21, 8, v17
	v_add_nc_u32_e32 v7, v7, v0
	v_add_nc_u32_e32 v6, v6, v0
	v_lshrrev_b32_e32 v22, 24, v17
	v_add_nc_u32_e32 v5, v5, v0
	v_add_nc_u32_e32 v3, v3, v0
	;; [unrolled: 3-line block ×3, first 2 shown]
	v_lshrrev_b32_e32 v24, 24, v18
	v_add_nc_u32_e32 v4, v4, v0
	ds_store_b8 v20, v19
	ds_store_b8 v7, v21 offset:192
	ds_store_b8_d16_hi v6, v17 offset:384
	ds_store_b8 v5, v22 offset:576
	ds_store_b8 v3, v18 offset:768
	;; [unrolled: 1-line block ×3, first 2 shown]
	ds_store_b8_d16_hi v2, v18 offset:1152
	ds_store_b8 v4, v24 offset:1344
	s_wait_loadcnt_dscnt 0x0
	s_barrier_signal -1
	s_barrier_wait -1
.LBB7_18:
	s_delay_alu instid0(VALU_DEP_1)
	v_dual_mov_b32 v2, 0 :: v_dual_and_b32 v1, 60, v8
	s_wait_loadcnt 0x0
	global_inv scope:SCOPE_SE
	s_load_b64 s[10:11], s[0:1], 0x68
	v_mbcnt_lo_u32_b32 v45, -1, 0
	v_add_nc_u32_e32 v1, v1, v38
	s_cmp_lg_u32 ttmp9, 0
	s_mov_b32 s3, -1
	s_delay_alu instid0(VALU_DEP_2)
	v_and_b32_e32 v46, 15, v45
	ds_load_2addr_b32 v[17:18], v1 offset1:1
	s_wait_loadcnt_dscnt 0x0
	s_barrier_signal -1
	s_barrier_wait -1
	global_inv scope:SCOPE_SE
	v_and_b32_e32 v41, 0xff, v17
	v_bfe_u32 v40, v17, 8, 8
	v_bfe_u32 v39, v17, 16, 8
	v_lshrrev_b32_e32 v37, 24, v17
	v_and_b32_e32 v44, 0xff, v18
	v_bfe_u32 v43, v18, 8, 8
	v_bfe_u32 v42, v18, 16, 8
	v_add3_u32 v1, v40, v41, v39
	v_lshrrev_b32_e32 v36, 24, v18
	s_delay_alu instid0(VALU_DEP_2) | instskip(SKIP_3) | instid1(VALU_DEP_3)
	v_add_co_u32 v1, s2, v1, v37
	s_wait_alu 0xf1ff
	v_add_co_ci_u32_e64 v3, null, 0, 0, s2
	v_cmp_ne_u32_e64 s2, 0, v46
	v_add_co_u32 v1, vcc_lo, v1, v44
	s_wait_alu 0xfffd
	s_delay_alu instid0(VALU_DEP_3) | instskip(NEXT) | instid1(VALU_DEP_2)
	v_add_co_ci_u32_e64 v3, null, 0, v3, vcc_lo
	v_add_co_u32 v1, vcc_lo, v1, v43
	s_wait_alu 0xfffd
	s_delay_alu instid0(VALU_DEP_2) | instskip(NEXT) | instid1(VALU_DEP_2)
	v_add_co_ci_u32_e64 v3, null, 0, v3, vcc_lo
	v_add_co_u32 v1, vcc_lo, v1, v42
	s_wait_alu 0xfffd
	s_delay_alu instid0(VALU_DEP_2) | instskip(NEXT) | instid1(VALU_DEP_2)
	v_add_co_ci_u32_e64 v3, null, 0, v3, vcc_lo
	v_add_co_u32 v19, vcc_lo, v1, v36
	s_wait_alu 0xfffd
	s_delay_alu instid0(VALU_DEP_2)
	v_add_co_ci_u32_e64 v20, null, 0, v3, vcc_lo
	s_cbranch_scc0 .LBB7_75
; %bb.19:
	v_mov_b32_e32 v3, v19
	v_mov_b32_dpp v1, v19 row_shr:1 row_mask:0xf bank_mask:0xf
	v_mov_b32_dpp v6, v2 row_shr:1 row_mask:0xf bank_mask:0xf
	v_dual_mov_b32 v5, v19 :: v_dual_mov_b32 v4, v20
	s_and_saveexec_b32 s3, s2
; %bb.20:
	s_delay_alu instid0(VALU_DEP_3) | instskip(SKIP_2) | instid1(VALU_DEP_2)
	v_add_co_u32 v5, vcc_lo, v19, v1
	s_wait_alu 0xfffd
	v_add_co_ci_u32_e64 v2, null, 0, v20, vcc_lo
	v_add_co_u32 v1, vcc_lo, 0, v5
	s_wait_alu 0xfffd
	s_delay_alu instid0(VALU_DEP_2) | instskip(NEXT) | instid1(VALU_DEP_1)
	v_add_co_ci_u32_e64 v2, null, v6, v2, vcc_lo
	v_dual_mov_b32 v4, v2 :: v_dual_mov_b32 v3, v1
; %bb.21:
	s_wait_alu 0xfffe
	s_or_b32 exec_lo, exec_lo, s3
	v_mov_b32_dpp v1, v5 row_shr:2 row_mask:0xf bank_mask:0xf
	v_mov_b32_dpp v6, v2 row_shr:2 row_mask:0xf bank_mask:0xf
	s_mov_b32 s3, exec_lo
	v_cmpx_lt_u32_e32 1, v46
; %bb.22:
	s_delay_alu instid0(VALU_DEP_3) | instskip(SKIP_2) | instid1(VALU_DEP_2)
	v_add_co_u32 v5, vcc_lo, v3, v1
	s_wait_alu 0xfffd
	v_add_co_ci_u32_e64 v2, null, 0, v4, vcc_lo
	v_add_co_u32 v1, vcc_lo, 0, v5
	s_wait_alu 0xfffd
	s_delay_alu instid0(VALU_DEP_2) | instskip(NEXT) | instid1(VALU_DEP_1)
	v_add_co_ci_u32_e64 v2, null, v6, v2, vcc_lo
	v_dual_mov_b32 v4, v2 :: v_dual_mov_b32 v3, v1
; %bb.23:
	s_wait_alu 0xfffe
	s_or_b32 exec_lo, exec_lo, s3
	v_mov_b32_dpp v1, v5 row_shr:4 row_mask:0xf bank_mask:0xf
	v_mov_b32_dpp v6, v2 row_shr:4 row_mask:0xf bank_mask:0xf
	s_mov_b32 s3, exec_lo
	v_cmpx_lt_u32_e32 3, v46
	;; [unrolled: 17-line block ×3, first 2 shown]
; %bb.26:
	s_delay_alu instid0(VALU_DEP_3) | instskip(SKIP_2) | instid1(VALU_DEP_2)
	v_add_co_u32 v5, vcc_lo, v3, v6
	s_wait_alu 0xfffd
	v_add_co_ci_u32_e64 v2, null, 0, v4, vcc_lo
	v_add_co_u32 v3, vcc_lo, 0, v5
	s_wait_alu 0xfffd
	s_delay_alu instid0(VALU_DEP_2) | instskip(NEXT) | instid1(VALU_DEP_1)
	v_add_co_ci_u32_e64 v4, null, v1, v2, vcc_lo
	v_mov_b32_e32 v2, v4
; %bb.27:
	s_wait_alu 0xfffe
	s_or_b32 exec_lo, exec_lo, s3
	ds_swizzle_b32 v1, v5 offset:swizzle(BROADCAST,32,15)
	ds_swizzle_b32 v6, v2 offset:swizzle(BROADCAST,32,15)
	v_and_b32_e32 v7, 16, v45
	s_mov_b32 s3, exec_lo
	s_delay_alu instid0(VALU_DEP_1)
	v_cmpx_ne_u32_e32 0, v7
	s_cbranch_execz .LBB7_29
; %bb.28:
	s_wait_dscnt 0x1
	v_add_co_u32 v5, vcc_lo, v3, v1
	s_wait_alu 0xfffd
	v_add_co_ci_u32_e64 v2, null, 0, v4, vcc_lo
	s_delay_alu instid0(VALU_DEP_2) | instskip(SKIP_2) | instid1(VALU_DEP_2)
	v_add_co_u32 v1, vcc_lo, 0, v5
	s_wait_dscnt 0x0
	s_wait_alu 0xfffd
	v_add_co_ci_u32_e64 v2, null, v6, v2, vcc_lo
	s_delay_alu instid0(VALU_DEP_1)
	v_dual_mov_b32 v4, v2 :: v_dual_mov_b32 v3, v1
.LBB7_29:
	s_wait_alu 0xfffe
	s_or_b32 exec_lo, exec_lo, s3
	s_wait_dscnt 0x1
	v_and_b32_e32 v1, 0xe0, v0
	s_mov_b32 s3, exec_lo
	s_delay_alu instid0(VALU_DEP_1) | instskip(NEXT) | instid1(VALU_DEP_1)
	v_min_u32_e32 v1, 0xa0, v1
	v_or_b32_e32 v1, 31, v1
	s_delay_alu instid0(VALU_DEP_1)
	v_cmpx_eq_u32_e64 v0, v1
; %bb.30:
	v_lshlrev_b32_e32 v1, 3, v35
	ds_store_b64 v1, v[3:4]
; %bb.31:
	s_wait_alu 0xfffe
	s_or_b32 exec_lo, exec_lo, s3
	s_delay_alu instid0(SALU_CYCLE_1)
	s_mov_b32 s3, exec_lo
	s_wait_loadcnt_dscnt 0x0
	s_barrier_signal -1
	s_barrier_wait -1
	global_inv scope:SCOPE_SE
	v_cmpx_gt_u32_e32 6, v0
	s_cbranch_execz .LBB7_39
; %bb.32:
	ds_load_b64 v[3:4], v38
	v_and_b32_e32 v1, 7, v45
	s_mov_b32 s4, exec_lo
	s_wait_dscnt 0x0
	v_mov_b32_dpp v8, v3 row_shr:1 row_mask:0xf bank_mask:0xf
	v_mov_b32_dpp v7, v4 row_shr:1 row_mask:0xf bank_mask:0xf
	v_mov_b32_e32 v6, v3
	v_cmpx_ne_u32_e32 0, v1
; %bb.33:
	s_delay_alu instid0(VALU_DEP_4) | instskip(SKIP_2) | instid1(VALU_DEP_2)
	v_add_co_u32 v6, vcc_lo, v3, v8
	s_wait_alu 0xfffd
	v_add_co_ci_u32_e64 v4, null, 0, v4, vcc_lo
	v_add_co_u32 v3, vcc_lo, 0, v6
	s_wait_alu 0xfffd
	s_delay_alu instid0(VALU_DEP_2)
	v_add_co_ci_u32_e64 v4, null, v7, v4, vcc_lo
; %bb.34:
	s_wait_alu 0xfffe
	s_or_b32 exec_lo, exec_lo, s4
	v_mov_b32_dpp v8, v6 row_shr:2 row_mask:0xf bank_mask:0xf
	s_delay_alu instid0(VALU_DEP_2)
	v_mov_b32_dpp v7, v4 row_shr:2 row_mask:0xf bank_mask:0xf
	s_mov_b32 s4, exec_lo
	v_cmpx_lt_u32_e32 1, v1
; %bb.35:
	s_delay_alu instid0(VALU_DEP_3) | instskip(SKIP_2) | instid1(VALU_DEP_2)
	v_add_co_u32 v6, vcc_lo, v3, v8
	s_wait_alu 0xfffd
	v_add_co_ci_u32_e64 v4, null, 0, v4, vcc_lo
	v_add_co_u32 v3, vcc_lo, 0, v6
	s_wait_alu 0xfffd
	s_delay_alu instid0(VALU_DEP_2)
	v_add_co_ci_u32_e64 v4, null, v7, v4, vcc_lo
; %bb.36:
	s_wait_alu 0xfffe
	s_or_b32 exec_lo, exec_lo, s4
	v_mov_b32_dpp v7, v6 row_shr:4 row_mask:0xf bank_mask:0xf
	s_delay_alu instid0(VALU_DEP_2)
	v_mov_b32_dpp v6, v4 row_shr:4 row_mask:0xf bank_mask:0xf
	s_mov_b32 s4, exec_lo
	v_cmpx_lt_u32_e32 3, v1
; %bb.37:
	s_delay_alu instid0(VALU_DEP_3) | instskip(SKIP_2) | instid1(VALU_DEP_2)
	v_add_co_u32 v1, vcc_lo, v3, v7
	s_wait_alu 0xfffd
	v_add_co_ci_u32_e64 v4, null, 0, v4, vcc_lo
	v_add_co_u32 v3, vcc_lo, v1, 0
	s_wait_alu 0xfffd
	s_delay_alu instid0(VALU_DEP_2)
	v_add_co_ci_u32_e64 v4, null, v4, v6, vcc_lo
; %bb.38:
	s_wait_alu 0xfffe
	s_or_b32 exec_lo, exec_lo, s4
	ds_store_b64 v38, v[3:4]
.LBB7_39:
	s_wait_alu 0xfffe
	s_or_b32 exec_lo, exec_lo, s3
	s_delay_alu instid0(SALU_CYCLE_1)
	s_mov_b32 s4, exec_lo
	v_cmp_gt_u32_e32 vcc_lo, 32, v0
	s_wait_loadcnt_dscnt 0x0
	s_barrier_signal -1
	s_barrier_wait -1
	global_inv scope:SCOPE_SE
                                        ; implicit-def: $vgpr21_vgpr22
	v_cmpx_lt_u32_e32 31, v0
	s_cbranch_execz .LBB7_41
; %bb.40:
	v_lshl_add_u32 v1, v35, 3, -8
	ds_load_b64 v[21:22], v1
	s_wait_dscnt 0x0
	v_add_co_u32 v5, s3, v5, v21
	s_wait_alu 0xf1ff
	v_add_co_ci_u32_e64 v2, null, v2, v22, s3
.LBB7_41:
	s_wait_alu 0xfffe
	s_or_b32 exec_lo, exec_lo, s4
	v_sub_co_u32 v1, s3, v45, 1
	s_delay_alu instid0(VALU_DEP_1) | instskip(SKIP_1) | instid1(VALU_DEP_1)
	v_cmp_gt_i32_e64 s4, 0, v1
	s_wait_alu 0xf1ff
	v_cndmask_b32_e64 v1, v1, v45, s4
	s_delay_alu instid0(VALU_DEP_1)
	v_lshlrev_b32_e32 v1, 2, v1
	ds_bpermute_b32 v27, v1, v5
	ds_bpermute_b32 v28, v1, v2
	s_and_saveexec_b32 s4, vcc_lo
	s_cbranch_execz .LBB7_80
; %bb.42:
	v_mov_b32_e32 v4, 0
	ds_load_b64 v[1:2], v4 offset:40
	s_and_saveexec_b32 s5, s3
	s_cbranch_execz .LBB7_44
; %bb.43:
	s_add_co_i32 s12, ttmp9, 32
	s_mov_b32 s13, 0
	s_delay_alu instid0(SALU_CYCLE_1)
	s_lshl_b64 s[12:13], s[12:13], 4
	s_wait_kmcnt 0x0
	s_add_nc_u64 s[12:13], s[10:11], s[12:13]
	v_mov_b32_e32 v3, 1
	v_dual_mov_b32 v5, s12 :: v_dual_mov_b32 v6, s13
	s_wait_dscnt 0x0
	;;#ASMSTART
	global_store_b128 v[5:6], v[1:4] off scope:SCOPE_DEV	
s_wait_storecnt 0x0
	;;#ASMEND
.LBB7_44:
	s_wait_alu 0xfffe
	s_or_b32 exec_lo, exec_lo, s5
	v_xad_u32 v23, v45, -1, ttmp9
	s_mov_b32 s12, 0
	s_mov_b32 s5, exec_lo
	s_delay_alu instid0(VALU_DEP_1) | instskip(NEXT) | instid1(VALU_DEP_1)
	v_add_nc_u32_e32 v3, 32, v23
	v_lshlrev_b64_e32 v[3:4], 4, v[3:4]
	s_wait_kmcnt 0x0
	s_delay_alu instid0(VALU_DEP_1) | instskip(SKIP_1) | instid1(VALU_DEP_2)
	v_add_co_u32 v3, vcc_lo, s10, v3
	s_wait_alu 0xfffd
	v_add_co_ci_u32_e64 v4, null, s11, v4, vcc_lo
	;;#ASMSTART
	global_load_b128 v[5:8], v[3:4] off scope:SCOPE_DEV	
s_wait_loadcnt 0x0
	;;#ASMEND
	v_and_b32_e32 v8, 0xff, v7
	s_delay_alu instid0(VALU_DEP_1)
	v_cmpx_eq_u16_e32 0, v8
	s_cbranch_execz .LBB7_47
.LBB7_45:                               ; =>This Inner Loop Header: Depth=1
	;;#ASMSTART
	global_load_b128 v[5:8], v[3:4] off scope:SCOPE_DEV	
s_wait_loadcnt 0x0
	;;#ASMEND
	v_and_b32_e32 v8, 0xff, v7
	s_delay_alu instid0(VALU_DEP_1)
	v_cmp_ne_u16_e32 vcc_lo, 0, v8
	s_wait_alu 0xfffe
	s_or_b32 s12, vcc_lo, s12
	s_wait_alu 0xfffe
	s_and_not1_b32 exec_lo, exec_lo, s12
	s_cbranch_execnz .LBB7_45
; %bb.46:
	s_or_b32 exec_lo, exec_lo, s12
.LBB7_47:
	s_wait_alu 0xfffe
	s_or_b32 exec_lo, exec_lo, s5
	v_cmp_ne_u32_e32 vcc_lo, 31, v45
	v_and_b32_e32 v4, 0xff, v7
	v_lshlrev_b32_e64 v30, v45, -1
	s_mov_b32 s5, exec_lo
	s_wait_alu 0xfffd
	v_add_co_ci_u32_e64 v3, null, 0, v45, vcc_lo
	v_cmp_eq_u16_e32 vcc_lo, 2, v4
	s_delay_alu instid0(VALU_DEP_2)
	v_dual_mov_b32 v4, v5 :: v_dual_lshlrev_b32 v29, 2, v3
	s_wait_alu 0xfffd
	v_and_or_b32 v3, vcc_lo, v30, 0x80000000
	ds_bpermute_b32 v24, v29, v5
	ds_bpermute_b32 v8, v29, v6
	v_ctz_i32_b32_e32 v3, v3
	s_delay_alu instid0(VALU_DEP_1)
	v_cmpx_lt_u32_e64 v45, v3
	s_cbranch_execz .LBB7_49
; %bb.48:
	s_wait_dscnt 0x1
	v_add_co_u32 v4, vcc_lo, v5, v24
	s_wait_alu 0xfffd
	v_add_co_ci_u32_e64 v6, null, 0, v6, vcc_lo
	s_delay_alu instid0(VALU_DEP_2) | instskip(SKIP_2) | instid1(VALU_DEP_2)
	v_add_co_u32 v5, vcc_lo, 0, v4
	s_wait_dscnt 0x0
	s_wait_alu 0xfffd
	v_add_co_ci_u32_e64 v6, null, v8, v6, vcc_lo
.LBB7_49:
	s_wait_alu 0xfffe
	s_or_b32 exec_lo, exec_lo, s5
	v_cmp_gt_u32_e32 vcc_lo, 30, v45
	v_add_nc_u32_e32 v32, 2, v45
	s_mov_b32 s5, exec_lo
	s_wait_dscnt 0x0
	s_wait_alu 0xfffd
	v_cndmask_b32_e64 v8, 0, 2, vcc_lo
	s_delay_alu instid0(VALU_DEP_1)
	v_add_lshl_u32 v31, v8, v45, 2
	ds_bpermute_b32 v24, v31, v4
	ds_bpermute_b32 v8, v31, v6
	v_cmpx_le_u32_e64 v32, v3
	s_cbranch_execz .LBB7_51
; %bb.50:
	s_wait_dscnt 0x1
	v_add_co_u32 v4, vcc_lo, v5, v24
	s_wait_alu 0xfffd
	v_add_co_ci_u32_e64 v6, null, 0, v6, vcc_lo
	s_delay_alu instid0(VALU_DEP_2) | instskip(SKIP_2) | instid1(VALU_DEP_2)
	v_add_co_u32 v5, vcc_lo, 0, v4
	s_wait_dscnt 0x0
	s_wait_alu 0xfffd
	v_add_co_ci_u32_e64 v6, null, v8, v6, vcc_lo
.LBB7_51:
	s_wait_alu 0xfffe
	s_or_b32 exec_lo, exec_lo, s5
	v_cmp_gt_u32_e32 vcc_lo, 28, v45
	v_add_nc_u32_e32 v34, 4, v45
	s_mov_b32 s5, exec_lo
	s_wait_dscnt 0x0
	s_wait_alu 0xfffd
	v_cndmask_b32_e64 v8, 0, 4, vcc_lo
	s_delay_alu instid0(VALU_DEP_1)
	v_add_lshl_u32 v33, v8, v45, 2
	ds_bpermute_b32 v24, v33, v4
	ds_bpermute_b32 v8, v33, v6
	v_cmpx_le_u32_e64 v34, v3
	;; [unrolled: 25-line block ×3, first 2 shown]
	s_cbranch_execz .LBB7_55
; %bb.54:
	s_wait_dscnt 0x1
	v_add_co_u32 v4, vcc_lo, v5, v24
	s_wait_alu 0xfffd
	v_add_co_ci_u32_e64 v6, null, 0, v6, vcc_lo
	s_delay_alu instid0(VALU_DEP_2) | instskip(SKIP_2) | instid1(VALU_DEP_2)
	v_add_co_u32 v5, vcc_lo, 0, v4
	s_wait_dscnt 0x0
	s_wait_alu 0xfffd
	v_add_co_ci_u32_e64 v6, null, v8, v6, vcc_lo
.LBB7_55:
	s_wait_alu 0xfffe
	s_or_b32 exec_lo, exec_lo, s5
	v_lshl_or_b32 v49, v45, 2, 64
	v_add_nc_u32_e32 v50, 16, v45
	s_mov_b32 s5, exec_lo
	s_wait_dscnt 0x0
	ds_bpermute_b32 v8, v49, v4
	ds_bpermute_b32 v4, v49, v6
	v_cmpx_le_u32_e64 v50, v3
	s_cbranch_execz .LBB7_57
; %bb.56:
	s_wait_dscnt 0x1
	v_add_co_u32 v3, vcc_lo, v5, v8
	s_wait_alu 0xfffd
	v_add_co_ci_u32_e64 v6, null, 0, v6, vcc_lo
	s_delay_alu instid0(VALU_DEP_2) | instskip(SKIP_2) | instid1(VALU_DEP_2)
	v_add_co_u32 v5, vcc_lo, v3, 0
	s_wait_dscnt 0x0
	s_wait_alu 0xfffd
	v_add_co_ci_u32_e64 v6, null, v6, v4, vcc_lo
.LBB7_57:
	s_wait_alu 0xfffe
	s_or_b32 exec_lo, exec_lo, s5
	v_mov_b32_e32 v24, 0
	s_branch .LBB7_60
.LBB7_58:                               ;   in Loop: Header=BB7_60 Depth=1
	s_wait_alu 0xfffe
	s_or_b32 exec_lo, exec_lo, s5
	v_add_co_u32 v5, vcc_lo, v5, v3
	v_subrev_nc_u32_e32 v23, 32, v23
	s_wait_alu 0xfffd
	v_add_co_ci_u32_e64 v6, null, v6, v4, vcc_lo
	s_mov_b32 s5, 0
.LBB7_59:                               ;   in Loop: Header=BB7_60 Depth=1
	s_wait_alu 0xfffe
	s_and_b32 vcc_lo, exec_lo, s5
	s_wait_alu 0xfffe
	s_cbranch_vccnz .LBB7_76
.LBB7_60:                               ; =>This Loop Header: Depth=1
                                        ;     Child Loop BB7_63 Depth 2
	v_and_b32_e32 v3, 0xff, v7
	s_mov_b32 s5, -1
	s_delay_alu instid0(VALU_DEP_1)
	v_cmp_ne_u16_e32 vcc_lo, 2, v3
	s_wait_dscnt 0x0
	v_dual_mov_b32 v3, v5 :: v_dual_mov_b32 v4, v6
                                        ; implicit-def: $vgpr5_vgpr6
	s_cmp_lg_u32 vcc_lo, exec_lo
	s_cbranch_scc1 .LBB7_59
; %bb.61:                               ;   in Loop: Header=BB7_60 Depth=1
	v_lshlrev_b64_e32 v[5:6], 4, v[23:24]
	s_mov_b32 s5, exec_lo
	s_delay_alu instid0(VALU_DEP_1) | instskip(SKIP_1) | instid1(VALU_DEP_2)
	v_add_co_u32 v25, vcc_lo, s10, v5
	s_wait_alu 0xfffd
	v_add_co_ci_u32_e64 v26, null, s11, v6, vcc_lo
	;;#ASMSTART
	global_load_b128 v[5:8], v[25:26] off scope:SCOPE_DEV	
s_wait_loadcnt 0x0
	;;#ASMEND
	v_and_b32_e32 v8, 0xff, v7
	s_delay_alu instid0(VALU_DEP_1)
	v_cmpx_eq_u16_e32 0, v8
	s_cbranch_execz .LBB7_65
; %bb.62:                               ;   in Loop: Header=BB7_60 Depth=1
	s_mov_b32 s12, 0
.LBB7_63:                               ;   Parent Loop BB7_60 Depth=1
                                        ; =>  This Inner Loop Header: Depth=2
	;;#ASMSTART
	global_load_b128 v[5:8], v[25:26] off scope:SCOPE_DEV	
s_wait_loadcnt 0x0
	;;#ASMEND
	v_and_b32_e32 v8, 0xff, v7
	s_delay_alu instid0(VALU_DEP_1)
	v_cmp_ne_u16_e32 vcc_lo, 0, v8
	s_wait_alu 0xfffe
	s_or_b32 s12, vcc_lo, s12
	s_wait_alu 0xfffe
	s_and_not1_b32 exec_lo, exec_lo, s12
	s_cbranch_execnz .LBB7_63
; %bb.64:                               ;   in Loop: Header=BB7_60 Depth=1
	s_or_b32 exec_lo, exec_lo, s12
.LBB7_65:                               ;   in Loop: Header=BB7_60 Depth=1
	s_wait_alu 0xfffe
	s_or_b32 exec_lo, exec_lo, s5
	v_dual_mov_b32 v25, v5 :: v_dual_and_b32 v8, 0xff, v7
	ds_bpermute_b32 v51, v29, v5
	ds_bpermute_b32 v26, v29, v6
	s_mov_b32 s5, exec_lo
	v_cmp_eq_u16_e32 vcc_lo, 2, v8
	s_wait_alu 0xfffd
	v_and_or_b32 v8, vcc_lo, v30, 0x80000000
	s_delay_alu instid0(VALU_DEP_1) | instskip(NEXT) | instid1(VALU_DEP_1)
	v_ctz_i32_b32_e32 v8, v8
	v_cmpx_lt_u32_e64 v45, v8
	s_cbranch_execz .LBB7_67
; %bb.66:                               ;   in Loop: Header=BB7_60 Depth=1
	s_wait_dscnt 0x1
	v_add_co_u32 v25, vcc_lo, v5, v51
	s_wait_alu 0xfffd
	v_add_co_ci_u32_e64 v6, null, 0, v6, vcc_lo
	s_delay_alu instid0(VALU_DEP_2) | instskip(SKIP_2) | instid1(VALU_DEP_2)
	v_add_co_u32 v5, vcc_lo, 0, v25
	s_wait_dscnt 0x0
	s_wait_alu 0xfffd
	v_add_co_ci_u32_e64 v6, null, v26, v6, vcc_lo
.LBB7_67:                               ;   in Loop: Header=BB7_60 Depth=1
	s_wait_alu 0xfffe
	s_or_b32 exec_lo, exec_lo, s5
	s_wait_dscnt 0x1
	ds_bpermute_b32 v51, v31, v25
	s_wait_dscnt 0x1
	ds_bpermute_b32 v26, v31, v6
	s_mov_b32 s5, exec_lo
	v_cmpx_le_u32_e64 v32, v8
	s_cbranch_execz .LBB7_69
; %bb.68:                               ;   in Loop: Header=BB7_60 Depth=1
	s_wait_dscnt 0x1
	v_add_co_u32 v25, vcc_lo, v5, v51
	s_wait_alu 0xfffd
	v_add_co_ci_u32_e64 v6, null, 0, v6, vcc_lo
	s_delay_alu instid0(VALU_DEP_2) | instskip(SKIP_2) | instid1(VALU_DEP_2)
	v_add_co_u32 v5, vcc_lo, 0, v25
	s_wait_dscnt 0x0
	s_wait_alu 0xfffd
	v_add_co_ci_u32_e64 v6, null, v26, v6, vcc_lo
.LBB7_69:                               ;   in Loop: Header=BB7_60 Depth=1
	s_wait_alu 0xfffe
	s_or_b32 exec_lo, exec_lo, s5
	s_wait_dscnt 0x1
	ds_bpermute_b32 v51, v33, v25
	s_wait_dscnt 0x1
	ds_bpermute_b32 v26, v33, v6
	s_mov_b32 s5, exec_lo
	v_cmpx_le_u32_e64 v34, v8
	;; [unrolled: 20-line block ×3, first 2 shown]
	s_cbranch_execz .LBB7_73
; %bb.72:                               ;   in Loop: Header=BB7_60 Depth=1
	s_wait_dscnt 0x1
	v_add_co_u32 v25, vcc_lo, v5, v51
	s_wait_alu 0xfffd
	v_add_co_ci_u32_e64 v6, null, 0, v6, vcc_lo
	s_delay_alu instid0(VALU_DEP_2) | instskip(SKIP_2) | instid1(VALU_DEP_2)
	v_add_co_u32 v5, vcc_lo, 0, v25
	s_wait_dscnt 0x0
	s_wait_alu 0xfffd
	v_add_co_ci_u32_e64 v6, null, v26, v6, vcc_lo
.LBB7_73:                               ;   in Loop: Header=BB7_60 Depth=1
	s_wait_alu 0xfffe
	s_or_b32 exec_lo, exec_lo, s5
	s_wait_dscnt 0x0
	ds_bpermute_b32 v26, v49, v25
	ds_bpermute_b32 v25, v49, v6
	s_mov_b32 s5, exec_lo
	v_cmpx_le_u32_e64 v50, v8
	s_cbranch_execz .LBB7_58
; %bb.74:                               ;   in Loop: Header=BB7_60 Depth=1
	s_wait_dscnt 0x1
	v_add_co_u32 v5, vcc_lo, v5, v26
	s_wait_alu 0xfffd
	v_add_co_ci_u32_e64 v6, null, 0, v6, vcc_lo
	s_delay_alu instid0(VALU_DEP_2) | instskip(SKIP_2) | instid1(VALU_DEP_2)
	v_add_co_u32 v5, vcc_lo, v5, 0
	s_wait_dscnt 0x0
	s_wait_alu 0xfffd
	v_add_co_ci_u32_e64 v6, null, v6, v25, vcc_lo
	s_branch .LBB7_58
.LBB7_75:
                                        ; implicit-def: $vgpr21_vgpr22
                                        ; implicit-def: $vgpr6_vgpr7
                                        ; implicit-def: $vgpr23_vgpr24
                                        ; implicit-def: $vgpr25_vgpr26
                                        ; implicit-def: $vgpr27_vgpr28
                                        ; implicit-def: $vgpr29_vgpr30
                                        ; implicit-def: $vgpr31_vgpr32
                                        ; implicit-def: $vgpr33_vgpr34
                                        ; implicit-def: $vgpr4_vgpr5
	s_load_b64 s[4:5], s[0:1], 0x30
	s_and_b32 vcc_lo, exec_lo, s3
	s_wait_alu 0xfffe
	s_cbranch_vccnz .LBB7_81
	s_branch .LBB7_106
.LBB7_76:
	s_and_saveexec_b32 s5, s3
	s_cbranch_execz .LBB7_78
; %bb.77:
	s_add_co_i32 s12, ttmp9, 32
	s_mov_b32 s13, 0
	v_add_co_u32 v5, vcc_lo, v3, v1
	s_wait_alu 0xfffe
	s_lshl_b64 s[12:13], s[12:13], 4
	v_dual_mov_b32 v7, 2 :: v_dual_mov_b32 v8, 0
	s_wait_alu 0xfffe
	s_add_nc_u64 s[12:13], s[10:11], s[12:13]
	s_wait_alu 0xfffd
	v_add_co_ci_u32_e64 v6, null, v4, v2, vcc_lo
	s_wait_alu 0xfffe
	v_dual_mov_b32 v24, s13 :: v_dual_mov_b32 v23, s12
	;;#ASMSTART
	global_store_b128 v[23:24], v[5:8] off scope:SCOPE_DEV	
s_wait_storecnt 0x0
	;;#ASMEND
	ds_store_b128 v8, v[1:4] offset:6336
.LBB7_78:
	s_wait_alu 0xfffe
	s_or_b32 exec_lo, exec_lo, s5
	v_cmp_eq_u32_e32 vcc_lo, 0, v0
	s_and_b32 exec_lo, exec_lo, vcc_lo
; %bb.79:
	v_mov_b32_e32 v1, 0
	ds_store_b64 v1, v[3:4] offset:40
.LBB7_80:
	s_wait_alu 0xfffe
	s_or_b32 exec_lo, exec_lo, s4
	s_wait_dscnt 0x1
	v_cndmask_b32_e64 v4, v27, v21, s3
	v_cmp_ne_u32_e32 vcc_lo, 0, v0
	v_mov_b32_e32 v3, 0
	s_wait_loadcnt_dscnt 0x0
	s_barrier_signal -1
	s_barrier_wait -1
	global_inv scope:SCOPE_SE
	s_wait_alu 0xfffd
	v_cndmask_b32_e32 v4, 0, v4, vcc_lo
	ds_load_b64 v[1:2], v3 offset:40
	v_cndmask_b32_e64 v5, v28, v22, s3
	s_wait_loadcnt_dscnt 0x0
	s_barrier_signal -1
	s_barrier_wait -1
	global_inv scope:SCOPE_SE
	v_cndmask_b32_e32 v5, 0, v5, vcc_lo
	v_add_co_u32 v33, vcc_lo, v1, v4
	s_wait_alu 0xfffd
	s_delay_alu instid0(VALU_DEP_2) | instskip(SKIP_4) | instid1(VALU_DEP_2)
	v_add_co_ci_u32_e64 v34, null, v2, v5, vcc_lo
	ds_load_b128 v[2:5], v3 offset:6336
	v_add_co_u32 v31, vcc_lo, v33, v41
	s_wait_alu 0xfffd
	v_add_co_ci_u32_e64 v32, null, 0, v34, vcc_lo
	v_add_co_u32 v29, vcc_lo, v31, v40
	s_wait_alu 0xfffd
	s_delay_alu instid0(VALU_DEP_2) | instskip(NEXT) | instid1(VALU_DEP_2)
	v_add_co_ci_u32_e64 v30, null, 0, v32, vcc_lo
	v_add_co_u32 v27, vcc_lo, v29, v39
	s_wait_alu 0xfffd
	s_delay_alu instid0(VALU_DEP_2) | instskip(NEXT) | instid1(VALU_DEP_2)
	;; [unrolled: 4-line block ×5, first 2 shown]
	v_add_co_ci_u32_e64 v7, null, 0, v24, vcc_lo
	v_add_co_u32 v21, vcc_lo, v6, v42
	s_wait_alu 0xfffd
	s_delay_alu instid0(VALU_DEP_2)
	v_add_co_ci_u32_e64 v22, null, 0, v7, vcc_lo
	s_load_b64 s[4:5], s[0:1], 0x30
	s_branch .LBB7_106
.LBB7_81:
	s_wait_dscnt 0x0
	v_dual_mov_b32 v2, 0 :: v_dual_mov_b32 v3, v19
	v_mov_b32_dpp v4, v19 row_shr:1 row_mask:0xf bank_mask:0xf
	s_delay_alu instid0(VALU_DEP_2)
	v_mov_b32_dpp v1, v2 row_shr:1 row_mask:0xf bank_mask:0xf
	s_and_saveexec_b32 s0, s2
; %bb.82:
	s_delay_alu instid0(VALU_DEP_2) | instskip(SKIP_2) | instid1(VALU_DEP_2)
	v_add_co_u32 v3, vcc_lo, v19, v4
	s_wait_alu 0xfffd
	v_add_co_ci_u32_e64 v2, null, 0, v20, vcc_lo
	v_add_co_u32 v19, vcc_lo, 0, v3
	s_wait_alu 0xfffd
	s_delay_alu instid0(VALU_DEP_2) | instskip(NEXT) | instid1(VALU_DEP_1)
	v_add_co_ci_u32_e64 v20, null, v1, v2, vcc_lo
	v_mov_b32_e32 v2, v20
; %bb.83:
	s_or_b32 exec_lo, exec_lo, s0
	v_mov_b32_dpp v1, v3 row_shr:2 row_mask:0xf bank_mask:0xf
	s_delay_alu instid0(VALU_DEP_2)
	v_mov_b32_dpp v4, v2 row_shr:2 row_mask:0xf bank_mask:0xf
	s_mov_b32 s0, exec_lo
	v_cmpx_lt_u32_e32 1, v46
; %bb.84:
	s_delay_alu instid0(VALU_DEP_3) | instskip(SKIP_2) | instid1(VALU_DEP_2)
	v_add_co_u32 v3, vcc_lo, v19, v1
	s_wait_alu 0xfffd
	v_add_co_ci_u32_e64 v2, null, 0, v20, vcc_lo
	v_add_co_u32 v1, vcc_lo, 0, v3
	s_wait_alu 0xfffd
	s_delay_alu instid0(VALU_DEP_2) | instskip(NEXT) | instid1(VALU_DEP_1)
	v_add_co_ci_u32_e64 v2, null, v4, v2, vcc_lo
	v_dual_mov_b32 v20, v2 :: v_dual_mov_b32 v19, v1
; %bb.85:
	s_or_b32 exec_lo, exec_lo, s0
	v_mov_b32_dpp v1, v3 row_shr:4 row_mask:0xf bank_mask:0xf
	v_mov_b32_dpp v4, v2 row_shr:4 row_mask:0xf bank_mask:0xf
	s_mov_b32 s0, exec_lo
	v_cmpx_lt_u32_e32 3, v46
; %bb.86:
	s_delay_alu instid0(VALU_DEP_3) | instskip(SKIP_2) | instid1(VALU_DEP_2)
	v_add_co_u32 v3, vcc_lo, v19, v1
	s_wait_alu 0xfffd
	v_add_co_ci_u32_e64 v2, null, 0, v20, vcc_lo
	v_add_co_u32 v1, vcc_lo, 0, v3
	s_wait_alu 0xfffd
	s_delay_alu instid0(VALU_DEP_2) | instskip(NEXT) | instid1(VALU_DEP_1)
	v_add_co_ci_u32_e64 v2, null, v4, v2, vcc_lo
	v_dual_mov_b32 v20, v2 :: v_dual_mov_b32 v19, v1
; %bb.87:
	s_or_b32 exec_lo, exec_lo, s0
	v_mov_b32_dpp v4, v3 row_shr:8 row_mask:0xf bank_mask:0xf
	v_mov_b32_dpp v1, v2 row_shr:8 row_mask:0xf bank_mask:0xf
	s_mov_b32 s0, exec_lo
	v_cmpx_lt_u32_e32 7, v46
; %bb.88:
	s_delay_alu instid0(VALU_DEP_3) | instskip(SKIP_2) | instid1(VALU_DEP_2)
	v_add_co_u32 v3, vcc_lo, v19, v4
	s_wait_alu 0xfffd
	v_add_co_ci_u32_e64 v2, null, 0, v20, vcc_lo
	v_add_co_u32 v19, vcc_lo, 0, v3
	s_wait_alu 0xfffd
	s_delay_alu instid0(VALU_DEP_2) | instskip(NEXT) | instid1(VALU_DEP_1)
	v_add_co_ci_u32_e64 v20, null, v1, v2, vcc_lo
	v_mov_b32_e32 v2, v20
; %bb.89:
	s_or_b32 exec_lo, exec_lo, s0
	ds_swizzle_b32 v3, v3 offset:swizzle(BROADCAST,32,15)
	ds_swizzle_b32 v1, v2 offset:swizzle(BROADCAST,32,15)
	v_and_b32_e32 v2, 16, v45
	s_mov_b32 s0, exec_lo
	s_delay_alu instid0(VALU_DEP_1)
	v_cmpx_ne_u32_e32 0, v2
	s_cbranch_execz .LBB7_91
; %bb.90:
	s_wait_dscnt 0x1
	v_add_co_u32 v2, vcc_lo, v19, v3
	s_wait_alu 0xfffd
	v_add_co_ci_u32_e64 v3, null, 0, v20, vcc_lo
	s_delay_alu instid0(VALU_DEP_2) | instskip(SKIP_2) | instid1(VALU_DEP_2)
	v_add_co_u32 v19, vcc_lo, v2, 0
	s_wait_dscnt 0x0
	s_wait_alu 0xfffd
	v_add_co_ci_u32_e64 v20, null, v3, v1, vcc_lo
.LBB7_91:
	s_or_b32 exec_lo, exec_lo, s0
	s_wait_dscnt 0x0
	v_and_b32_e32 v1, 0xe0, v0
	s_mov_b32 s0, exec_lo
	s_delay_alu instid0(VALU_DEP_1) | instskip(NEXT) | instid1(VALU_DEP_1)
	v_min_u32_e32 v1, 0xa0, v1
	v_or_b32_e32 v1, 31, v1
	s_delay_alu instid0(VALU_DEP_1)
	v_cmpx_eq_u32_e64 v0, v1
; %bb.92:
	v_lshlrev_b32_e32 v1, 3, v35
	ds_store_b64 v1, v[19:20]
; %bb.93:
	s_or_b32 exec_lo, exec_lo, s0
	s_delay_alu instid0(SALU_CYCLE_1)
	s_mov_b32 s0, exec_lo
	s_wait_loadcnt_dscnt 0x0
	s_barrier_signal -1
	s_barrier_wait -1
	global_inv scope:SCOPE_SE
	v_cmpx_gt_u32_e32 6, v0
	s_cbranch_execz .LBB7_101
; %bb.94:
	ds_load_b64 v[1:2], v38
	v_and_b32_e32 v3, 7, v45
	s_mov_b32 s1, exec_lo
	s_wait_dscnt 0x0
	v_mov_b32_dpp v6, v1 row_shr:1 row_mask:0xf bank_mask:0xf
	v_mov_b32_dpp v5, v2 row_shr:1 row_mask:0xf bank_mask:0xf
	v_mov_b32_e32 v4, v1
	v_cmpx_ne_u32_e32 0, v3
; %bb.95:
	s_delay_alu instid0(VALU_DEP_4) | instskip(SKIP_2) | instid1(VALU_DEP_2)
	v_add_co_u32 v4, vcc_lo, v1, v6
	s_wait_alu 0xfffd
	v_add_co_ci_u32_e64 v2, null, 0, v2, vcc_lo
	v_add_co_u32 v1, vcc_lo, 0, v4
	s_wait_alu 0xfffd
	s_delay_alu instid0(VALU_DEP_2)
	v_add_co_ci_u32_e64 v2, null, v5, v2, vcc_lo
; %bb.96:
	s_or_b32 exec_lo, exec_lo, s1
	v_mov_b32_dpp v6, v4 row_shr:2 row_mask:0xf bank_mask:0xf
	s_delay_alu instid0(VALU_DEP_2)
	v_mov_b32_dpp v5, v2 row_shr:2 row_mask:0xf bank_mask:0xf
	s_mov_b32 s1, exec_lo
	v_cmpx_lt_u32_e32 1, v3
; %bb.97:
	s_delay_alu instid0(VALU_DEP_3) | instskip(SKIP_2) | instid1(VALU_DEP_2)
	v_add_co_u32 v4, vcc_lo, v1, v6
	s_wait_alu 0xfffd
	v_add_co_ci_u32_e64 v2, null, 0, v2, vcc_lo
	v_add_co_u32 v1, vcc_lo, 0, v4
	s_wait_alu 0xfffd
	s_delay_alu instid0(VALU_DEP_2)
	v_add_co_ci_u32_e64 v2, null, v5, v2, vcc_lo
; %bb.98:
	s_or_b32 exec_lo, exec_lo, s1
	v_mov_b32_dpp v5, v4 row_shr:4 row_mask:0xf bank_mask:0xf
	s_delay_alu instid0(VALU_DEP_2)
	v_mov_b32_dpp v4, v2 row_shr:4 row_mask:0xf bank_mask:0xf
	s_mov_b32 s1, exec_lo
	v_cmpx_lt_u32_e32 3, v3
; %bb.99:
	s_delay_alu instid0(VALU_DEP_3) | instskip(SKIP_2) | instid1(VALU_DEP_2)
	v_add_co_u32 v1, vcc_lo, v1, v5
	s_wait_alu 0xfffd
	v_add_co_ci_u32_e64 v2, null, 0, v2, vcc_lo
	v_add_co_u32 v1, vcc_lo, v1, 0
	s_wait_alu 0xfffd
	s_delay_alu instid0(VALU_DEP_2)
	v_add_co_ci_u32_e64 v2, null, v2, v4, vcc_lo
; %bb.100:
	s_or_b32 exec_lo, exec_lo, s1
	ds_store_b64 v38, v[1:2]
.LBB7_101:
	s_or_b32 exec_lo, exec_lo, s0
	v_mov_b32_e32 v6, 0
	v_mov_b32_e32 v7, 0
	s_mov_b32 s0, exec_lo
	s_wait_loadcnt_dscnt 0x0
	s_barrier_signal -1
	s_barrier_wait -1
	global_inv scope:SCOPE_SE
	v_cmpx_lt_u32_e32 31, v0
; %bb.102:
	v_lshl_add_u32 v1, v35, 3, -8
	ds_load_b64 v[6:7], v1
; %bb.103:
	s_or_b32 exec_lo, exec_lo, s0
	v_sub_co_u32 v1, vcc_lo, v45, 1
	v_mov_b32_e32 v5, 0
	s_delay_alu instid0(VALU_DEP_2) | instskip(NEXT) | instid1(VALU_DEP_1)
	v_cmp_gt_i32_e64 s0, 0, v1
	v_cndmask_b32_e64 v1, v1, v45, s0
	s_delay_alu instid0(VALU_DEP_1)
	v_lshlrev_b32_e32 v2, 2, v1
	s_wait_dscnt 0x0
	v_add_co_u32 v1, s0, v6, v19
	s_wait_alu 0xf1ff
	v_add_co_ci_u32_e64 v3, null, v7, v20, s0
	v_cmp_eq_u32_e64 s0, 0, v0
	ds_bpermute_b32 v1, v2, v1
	ds_bpermute_b32 v8, v2, v3
	ds_load_b64 v[2:3], v5 offset:40
	s_and_saveexec_b32 s1, s0
	s_cbranch_execz .LBB7_105
; %bb.104:
	s_wait_kmcnt 0x0
	s_add_nc_u64 s[2:3], s[10:11], 0x200
	v_mov_b32_e32 v4, 2
	s_wait_alu 0xfffe
	v_dual_mov_b32 v20, s3 :: v_dual_mov_b32 v19, s2
	s_wait_dscnt 0x0
	;;#ASMSTART
	global_store_b128 v[19:20], v[2:5] off scope:SCOPE_DEV	
s_wait_storecnt 0x0
	;;#ASMEND
.LBB7_105:
	s_wait_alu 0xfffe
	s_or_b32 exec_lo, exec_lo, s1
	s_wait_dscnt 0x1
	s_wait_alu 0xfffd
	v_dual_cndmask_b32 v1, v1, v6 :: v_dual_cndmask_b32 v4, v8, v7
	s_wait_loadcnt_dscnt 0x0
	s_barrier_signal -1
	s_barrier_wait -1
	s_delay_alu instid0(VALU_DEP_1)
	v_cndmask_b32_e64 v33, v1, 0, s0
	v_cndmask_b32_e64 v34, v4, 0, s0
	v_mov_b32_e32 v4, 0
	v_mov_b32_e32 v5, 0
	global_inv scope:SCOPE_SE
	v_add_co_u32 v31, vcc_lo, v33, v41
	s_wait_alu 0xfffd
	v_add_co_ci_u32_e64 v32, null, 0, v34, vcc_lo
	s_delay_alu instid0(VALU_DEP_2) | instskip(SKIP_1) | instid1(VALU_DEP_2)
	v_add_co_u32 v29, vcc_lo, v31, v40
	s_wait_alu 0xfffd
	v_add_co_ci_u32_e64 v30, null, 0, v32, vcc_lo
	s_delay_alu instid0(VALU_DEP_2) | instskip(SKIP_1) | instid1(VALU_DEP_2)
	;; [unrolled: 4-line block ×6, first 2 shown]
	v_add_co_u32 v21, vcc_lo, v6, v42
	s_wait_alu 0xfffd
	v_add_co_ci_u32_e64 v22, null, 0, v7, vcc_lo
.LBB7_106:
	v_lshrrev_b32_e32 v38, 8, v17
	v_lshrrev_b32_e32 v35, 16, v17
	v_and_b32_e32 v17, 1, v17
	s_wait_dscnt 0x0
	v_cmp_gt_u64_e32 vcc_lo, 0xc1, v[2:3]
	v_lshrrev_b32_e32 v8, 8, v18
	v_lshrrev_b32_e32 v1, 16, v18
	s_mov_b32 s1, -1
	v_cmp_eq_u32_e64 s0, 1, v17
	s_cbranch_vccnz .LBB7_110
; %bb.107:
	s_wait_alu 0xfffe
	s_and_b32 vcc_lo, exec_lo, s1
	s_wait_alu 0xfffe
	s_cbranch_vccnz .LBB7_127
.LBB7_108:
	v_cmp_eq_u32_e32 vcc_lo, 0, v0
	s_and_b32 s0, vcc_lo, s14
	s_wait_alu 0xfffe
	s_and_saveexec_b32 s1, s0
	s_cbranch_execnz .LBB7_147
.LBB7_109:
	s_endpgm
.LBB7_110:
	v_add_co_u32 v19, vcc_lo, v4, v2
	s_wait_alu 0xfffd
	v_add_co_ci_u32_e64 v20, null, v5, v3, vcc_lo
	s_lshl_b64 s[2:3], s[6:7], 2
	s_wait_kmcnt 0x0
	s_wait_alu 0xfffe
	s_add_nc_u64 s[2:3], s[4:5], s[2:3]
	v_cmp_lt_u64_e32 vcc_lo, v[33:34], v[19:20]
	s_or_b32 s1, s15, vcc_lo
	s_wait_alu 0xfffe
	s_and_b32 s1, s1, s0
	s_wait_alu 0xfffe
	s_and_saveexec_b32 s0, s1
	s_cbranch_execz .LBB7_112
; %bb.111:
	v_lshlrev_b64_e32 v[39:40], 2, v[33:34]
	s_delay_alu instid0(VALU_DEP_1) | instskip(SKIP_1) | instid1(VALU_DEP_2)
	v_add_co_u32 v39, vcc_lo, s2, v39
	s_wait_alu 0xfffd
	v_add_co_ci_u32_e64 v40, null, s3, v40, vcc_lo
	global_store_b32 v[39:40], v15, off
.LBB7_112:
	s_wait_alu 0xfffe
	s_or_b32 exec_lo, exec_lo, s0
	v_and_b32_e32 v34, 1, v38
	v_cmp_lt_u64_e32 vcc_lo, v[31:32], v[19:20]
	s_delay_alu instid0(VALU_DEP_2)
	v_cmp_eq_u32_e64 s0, 1, v34
	s_or_b32 s1, s15, vcc_lo
	s_wait_alu 0xfffe
	s_and_b32 s1, s1, s0
	s_wait_alu 0xfffe
	s_and_saveexec_b32 s0, s1
	s_cbranch_execz .LBB7_114
; %bb.113:
	v_lshlrev_b64_e32 v[39:40], 2, v[31:32]
	s_delay_alu instid0(VALU_DEP_1) | instskip(SKIP_1) | instid1(VALU_DEP_2)
	v_add_co_u32 v39, vcc_lo, s2, v39
	s_wait_alu 0xfffd
	v_add_co_ci_u32_e64 v40, null, s3, v40, vcc_lo
	global_store_b32 v[39:40], v16, off
.LBB7_114:
	s_wait_alu 0xfffe
	s_or_b32 exec_lo, exec_lo, s0
	v_and_b32_e32 v32, 1, v35
	v_cmp_lt_u64_e32 vcc_lo, v[29:30], v[19:20]
	s_delay_alu instid0(VALU_DEP_2)
	v_cmp_eq_u32_e64 s0, 1, v32
	;; [unrolled: 20-line block ×7, first 2 shown]
	s_or_b32 s1, s15, vcc_lo
	s_wait_alu 0xfffe
	s_and_b32 s1, s1, s0
	s_wait_alu 0xfffe
	s_and_saveexec_b32 s0, s1
	s_cbranch_execz .LBB7_126
; %bb.125:
	v_lshlrev_b64_e32 v[19:20], 2, v[21:22]
	s_delay_alu instid0(VALU_DEP_1) | instskip(SKIP_1) | instid1(VALU_DEP_2)
	v_add_co_u32 v19, vcc_lo, s2, v19
	s_wait_alu 0xfffd
	v_add_co_ci_u32_e64 v20, null, s3, v20, vcc_lo
	global_store_b32 v[19:20], v10, off
.LBB7_126:
	s_wait_alu 0xfffe
	s_or_b32 exec_lo, exec_lo, s0
	s_branch .LBB7_108
.LBB7_127:
	s_mov_b32 s0, exec_lo
	v_cmpx_eq_u32_e32 1, v17
; %bb.128:
	v_sub_nc_u32_e32 v7, v33, v4
	s_delay_alu instid0(VALU_DEP_1)
	v_lshlrev_b32_e32 v7, 2, v7
	ds_store_b32 v7, v15
; %bb.129:
	s_wait_alu 0xfffe
	s_or_b32 exec_lo, exec_lo, s0
	v_and_b32_e32 v7, 1, v38
	s_mov_b32 s0, exec_lo
	s_delay_alu instid0(VALU_DEP_1)
	v_cmpx_eq_u32_e32 1, v7
; %bb.130:
	v_sub_nc_u32_e32 v7, v31, v4
	s_delay_alu instid0(VALU_DEP_1)
	v_lshlrev_b32_e32 v7, 2, v7
	ds_store_b32 v7, v16
; %bb.131:
	s_wait_alu 0xfffe
	s_or_b32 exec_lo, exec_lo, s0
	v_and_b32_e32 v7, 1, v35
	s_mov_b32 s0, exec_lo
	s_delay_alu instid0(VALU_DEP_1)
	;; [unrolled: 12-line block ×7, first 2 shown]
	v_cmpx_eq_u32_e32 1, v1
; %bb.142:
	v_sub_nc_u32_e32 v1, v21, v4
	s_delay_alu instid0(VALU_DEP_1)
	v_lshlrev_b32_e32 v1, 2, v1
	ds_store_b32 v1, v10
; %bb.143:
	s_wait_alu 0xfffe
	s_or_b32 exec_lo, exec_lo, s0
	v_mov_b32_e32 v7, 0
	s_mov_b32 s1, exec_lo
	s_wait_storecnt 0x0
	s_wait_loadcnt_dscnt 0x0
	s_barrier_signal -1
	s_barrier_wait -1
	v_mov_b32_e32 v1, v7
	global_inv scope:SCOPE_SE
	v_cmpx_gt_u64_e64 v[2:3], v[0:1]
	s_cbranch_execz .LBB7_146
; %bb.144:
	v_lshlrev_b64_e32 v[8:9], 2, v[4:5]
	s_lshl_b64 s[2:3], s[6:7], 2
	v_add_nc_u32_e32 v6, 0xc0, v0
	s_wait_kmcnt 0x0
	s_delay_alu instid0(VALU_DEP_2) | instskip(SKIP_3) | instid1(VALU_DEP_2)
	v_add_co_u32 v8, vcc_lo, s4, v8
	s_wait_alu 0xfffd
	v_add_co_ci_u32_e64 v9, null, s5, v9, vcc_lo
	s_wait_alu 0xfffe
	v_add_co_u32 v10, vcc_lo, v8, s2
	s_wait_alu 0xfffd
	s_delay_alu instid0(VALU_DEP_2)
	v_add_co_ci_u32_e64 v11, null, s3, v9, vcc_lo
	v_dual_mov_b32 v9, v1 :: v_dual_mov_b32 v8, v0
	s_mov_b32 s2, 0
.LBB7_145:                              ; =>This Inner Loop Header: Depth=1
	s_delay_alu instid0(VALU_DEP_1) | instskip(NEXT) | instid1(VALU_DEP_2)
	v_lshlrev_b32_e32 v1, 2, v8
	v_lshlrev_b64_e32 v[12:13], 2, v[8:9]
	v_dual_mov_b32 v9, v7 :: v_dual_mov_b32 v8, v6
	v_cmp_le_u64_e32 vcc_lo, v[2:3], v[6:7]
	ds_load_b32 v1, v1
	v_add_nc_u32_e32 v6, 0xc0, v6
	v_add_co_u32 v12, s0, v10, v12
	s_wait_alu 0xf1ff
	v_add_co_ci_u32_e64 v13, null, v11, v13, s0
	s_wait_alu 0xfffe
	s_or_b32 s2, vcc_lo, s2
	s_wait_dscnt 0x0
	global_store_b32 v[12:13], v1, off
	s_wait_alu 0xfffe
	s_and_not1_b32 exec_lo, exec_lo, s2
	s_cbranch_execnz .LBB7_145
.LBB7_146:
	s_wait_alu 0xfffe
	s_or_b32 exec_lo, exec_lo, s1
	v_cmp_eq_u32_e32 vcc_lo, 0, v0
	s_and_b32 s0, vcc_lo, s14
	s_wait_alu 0xfffe
	s_and_saveexec_b32 s1, s0
	s_cbranch_execz .LBB7_109
.LBB7_147:
	v_add_co_u32 v0, vcc_lo, v4, v2
	s_wait_alu 0xfffd
	v_add_co_ci_u32_e64 v1, null, v5, v3, vcc_lo
	v_mov_b32_e32 v2, 0
	s_delay_alu instid0(VALU_DEP_3) | instskip(SKIP_1) | instid1(VALU_DEP_3)
	v_add_co_u32 v0, vcc_lo, v0, s6
	s_wait_alu 0xfffd
	v_add_co_ci_u32_e64 v1, null, s7, v1, vcc_lo
	global_store_b64 v2, v[0:1], s[8:9]
	s_endpgm
.LBB7_148:
	global_load_b32 v21, v7, s[2:3] offset:768
	v_and_b32_e32 v22, 0xff, v17
	s_wait_loadcnt 0x0
	v_cmp_ne_u32_e32 vcc_lo, 0, v21
	s_wait_alu 0xfffd
	v_cndmask_b32_e64 v21, 0, 1, vcc_lo
	s_delay_alu instid0(VALU_DEP_1) | instskip(NEXT) | instid1(VALU_DEP_1)
	v_lshlrev_b16 v21, 8, v21
	v_or_b32_e32 v21, v22, v21
	s_delay_alu instid0(VALU_DEP_1) | instskip(NEXT) | instid1(VALU_DEP_1)
	v_and_b32_e32 v21, 0xffff, v21
	v_and_or_b32 v17, 0xffff0000, v17, v21
	s_wait_alu 0xfffe
	s_or_b32 exec_lo, exec_lo, s4
	s_delay_alu instid0(SALU_CYCLE_1)
	s_mov_b32 s4, exec_lo
	v_cmpx_gt_u32_e64 s16, v6
	s_cbranch_execz .LBB7_11
.LBB7_149:
	global_load_b32 v21, v7, s[2:3] offset:1536
	v_lshrrev_b32_e32 v22, 16, v17
	s_delay_alu instid0(VALU_DEP_1) | instskip(SKIP_4) | instid1(VALU_DEP_1)
	v_and_b32_e32 v22, 0xffffff00, v22
	s_wait_loadcnt 0x0
	v_cmp_ne_u32_e32 vcc_lo, 0, v21
	s_wait_alu 0xfffd
	v_cndmask_b32_e64 v21, 0, 1, vcc_lo
	v_or_b32_e32 v21, v21, v22
	s_delay_alu instid0(VALU_DEP_1) | instskip(NEXT) | instid1(VALU_DEP_1)
	v_lshlrev_b32_e32 v21, 16, v21
	v_and_or_b32 v17, 0xffff, v17, v21
	s_wait_alu 0xfffe
	s_or_b32 exec_lo, exec_lo, s4
	s_delay_alu instid0(SALU_CYCLE_1)
	s_mov_b32 s4, exec_lo
	v_cmpx_gt_u32_e64 s16, v5
	s_cbranch_execz .LBB7_12
.LBB7_150:
	global_load_b32 v21, v7, s[2:3] offset:2304
	v_lshrrev_b32_e32 v22, 16, v17
	s_delay_alu instid0(VALU_DEP_1) | instskip(SKIP_4) | instid1(VALU_DEP_1)
	v_and_b32_e32 v22, 0xff, v22
	s_wait_loadcnt 0x0
	v_cmp_ne_u32_e32 vcc_lo, 0, v21
	s_wait_alu 0xfffd
	v_cndmask_b32_e64 v21, 0, 1, vcc_lo
	v_lshlrev_b16 v21, 8, v21
	s_delay_alu instid0(VALU_DEP_1) | instskip(NEXT) | instid1(VALU_DEP_1)
	v_or_b32_e32 v21, v22, v21
	v_lshlrev_b32_e32 v21, 16, v21
	s_delay_alu instid0(VALU_DEP_1) | instskip(SKIP_2) | instid1(SALU_CYCLE_1)
	v_and_or_b32 v17, 0xffff, v17, v21
	s_wait_alu 0xfffe
	s_or_b32 exec_lo, exec_lo, s4
	s_mov_b32 s4, exec_lo
	v_cmpx_gt_u32_e64 s16, v3
	s_cbranch_execz .LBB7_13
.LBB7_151:
	global_load_b32 v21, v7, s[2:3] offset:3072
	v_and_b32_e32 v22, 0xffffff00, v18
	s_wait_loadcnt 0x0
	v_cmp_ne_u32_e32 vcc_lo, 0, v21
	s_wait_alu 0xfffd
	v_cndmask_b32_e64 v21, 0, 1, vcc_lo
	s_delay_alu instid0(VALU_DEP_1) | instskip(NEXT) | instid1(VALU_DEP_1)
	v_or_b32_e32 v21, v21, v22
	v_and_b32_e32 v21, 0xffff, v21
	s_delay_alu instid0(VALU_DEP_1) | instskip(SKIP_2) | instid1(SALU_CYCLE_1)
	v_and_or_b32 v18, 0xffff0000, v18, v21
	s_wait_alu 0xfffe
	s_or_b32 exec_lo, exec_lo, s4
	s_mov_b32 s4, exec_lo
	v_cmpx_gt_u32_e64 s16, v1
	s_cbranch_execz .LBB7_14
.LBB7_152:
	global_load_b32 v21, v7, s[2:3] offset:3840
	v_and_b32_e32 v22, 0xff, v18
	s_wait_loadcnt 0x0
	v_cmp_ne_u32_e32 vcc_lo, 0, v21
	s_wait_alu 0xfffd
	v_cndmask_b32_e64 v21, 0, 1, vcc_lo
	s_delay_alu instid0(VALU_DEP_1) | instskip(NEXT) | instid1(VALU_DEP_1)
	v_lshlrev_b16 v21, 8, v21
	v_or_b32_e32 v21, v22, v21
	s_delay_alu instid0(VALU_DEP_1) | instskip(NEXT) | instid1(VALU_DEP_1)
	v_and_b32_e32 v21, 0xffff, v21
	v_and_or_b32 v18, 0xffff0000, v18, v21
	s_wait_alu 0xfffe
	s_or_b32 exec_lo, exec_lo, s4
	s_delay_alu instid0(SALU_CYCLE_1)
	s_mov_b32 s4, exec_lo
	v_cmpx_gt_u32_e64 s16, v2
	s_cbranch_execz .LBB7_15
.LBB7_153:
	global_load_b32 v21, v7, s[2:3] offset:4608
	v_lshrrev_b32_e32 v22, 16, v18
	s_delay_alu instid0(VALU_DEP_1) | instskip(SKIP_4) | instid1(VALU_DEP_1)
	v_and_b32_e32 v22, 0xffffff00, v22
	s_wait_loadcnt 0x0
	v_cmp_ne_u32_e32 vcc_lo, 0, v21
	s_wait_alu 0xfffd
	v_cndmask_b32_e64 v21, 0, 1, vcc_lo
	v_or_b32_e32 v21, v21, v22
	s_delay_alu instid0(VALU_DEP_1) | instskip(NEXT) | instid1(VALU_DEP_1)
	v_lshlrev_b32_e32 v21, 16, v21
	v_and_or_b32 v18, 0xffff, v18, v21
	s_wait_alu 0xfffe
	s_or_b32 exec_lo, exec_lo, s4
	s_delay_alu instid0(SALU_CYCLE_1)
	s_mov_b32 s4, exec_lo
	v_cmpx_gt_u32_e64 s16, v4
	s_cbranch_execnz .LBB7_16
	s_branch .LBB7_17
	.section	.rodata,"a",@progbits
	.p2align	6, 0x0
	.amdhsa_kernel _ZN7rocprim17ROCPRIM_400000_NS6detail17trampoline_kernelINS0_14default_configENS1_25partition_config_selectorILNS1_17partition_subalgoE5EiNS0_10empty_typeEbEEZZNS1_14partition_implILS5_5ELb0ES3_mN6thrust23THRUST_200600_302600_NS17counting_iteratorIiNSA_11use_defaultESC_SC_EEPS6_NSA_18transform_iteratorINSA_8identityIiEENSA_6detail15normal_iteratorINSA_10device_ptrIiEEEESC_SC_EENS0_5tupleIJSM_S6_EEENSO_IJSE_SE_EEES6_PlJS6_EEE10hipError_tPvRmT3_T4_T5_T6_T7_T9_mT8_P12ihipStream_tbDpT10_ENKUlT_T0_E_clISt17integral_constantIbLb0EES1B_EEDaS16_S17_EUlS16_E_NS1_11comp_targetILNS1_3genE10ELNS1_11target_archE1200ELNS1_3gpuE4ELNS1_3repE0EEENS1_30default_config_static_selectorELNS0_4arch9wavefront6targetE0EEEvT1_
		.amdhsa_group_segment_fixed_size 6352
		.amdhsa_private_segment_fixed_size 0
		.amdhsa_kernarg_size 120
		.amdhsa_user_sgpr_count 2
		.amdhsa_user_sgpr_dispatch_ptr 0
		.amdhsa_user_sgpr_queue_ptr 0
		.amdhsa_user_sgpr_kernarg_segment_ptr 1
		.amdhsa_user_sgpr_dispatch_id 0
		.amdhsa_user_sgpr_private_segment_size 0
		.amdhsa_wavefront_size32 1
		.amdhsa_uses_dynamic_stack 0
		.amdhsa_enable_private_segment 0
		.amdhsa_system_sgpr_workgroup_id_x 1
		.amdhsa_system_sgpr_workgroup_id_y 0
		.amdhsa_system_sgpr_workgroup_id_z 0
		.amdhsa_system_sgpr_workgroup_info 0
		.amdhsa_system_vgpr_workitem_id 0
		.amdhsa_next_free_vgpr 52
		.amdhsa_next_free_sgpr 18
		.amdhsa_reserve_vcc 1
		.amdhsa_float_round_mode_32 0
		.amdhsa_float_round_mode_16_64 0
		.amdhsa_float_denorm_mode_32 3
		.amdhsa_float_denorm_mode_16_64 3
		.amdhsa_fp16_overflow 0
		.amdhsa_workgroup_processor_mode 1
		.amdhsa_memory_ordered 1
		.amdhsa_forward_progress 1
		.amdhsa_inst_pref_size 68
		.amdhsa_round_robin_scheduling 0
		.amdhsa_exception_fp_ieee_invalid_op 0
		.amdhsa_exception_fp_denorm_src 0
		.amdhsa_exception_fp_ieee_div_zero 0
		.amdhsa_exception_fp_ieee_overflow 0
		.amdhsa_exception_fp_ieee_underflow 0
		.amdhsa_exception_fp_ieee_inexact 0
		.amdhsa_exception_int_div_zero 0
	.end_amdhsa_kernel
	.section	.text._ZN7rocprim17ROCPRIM_400000_NS6detail17trampoline_kernelINS0_14default_configENS1_25partition_config_selectorILNS1_17partition_subalgoE5EiNS0_10empty_typeEbEEZZNS1_14partition_implILS5_5ELb0ES3_mN6thrust23THRUST_200600_302600_NS17counting_iteratorIiNSA_11use_defaultESC_SC_EEPS6_NSA_18transform_iteratorINSA_8identityIiEENSA_6detail15normal_iteratorINSA_10device_ptrIiEEEESC_SC_EENS0_5tupleIJSM_S6_EEENSO_IJSE_SE_EEES6_PlJS6_EEE10hipError_tPvRmT3_T4_T5_T6_T7_T9_mT8_P12ihipStream_tbDpT10_ENKUlT_T0_E_clISt17integral_constantIbLb0EES1B_EEDaS16_S17_EUlS16_E_NS1_11comp_targetILNS1_3genE10ELNS1_11target_archE1200ELNS1_3gpuE4ELNS1_3repE0EEENS1_30default_config_static_selectorELNS0_4arch9wavefront6targetE0EEEvT1_,"axG",@progbits,_ZN7rocprim17ROCPRIM_400000_NS6detail17trampoline_kernelINS0_14default_configENS1_25partition_config_selectorILNS1_17partition_subalgoE5EiNS0_10empty_typeEbEEZZNS1_14partition_implILS5_5ELb0ES3_mN6thrust23THRUST_200600_302600_NS17counting_iteratorIiNSA_11use_defaultESC_SC_EEPS6_NSA_18transform_iteratorINSA_8identityIiEENSA_6detail15normal_iteratorINSA_10device_ptrIiEEEESC_SC_EENS0_5tupleIJSM_S6_EEENSO_IJSE_SE_EEES6_PlJS6_EEE10hipError_tPvRmT3_T4_T5_T6_T7_T9_mT8_P12ihipStream_tbDpT10_ENKUlT_T0_E_clISt17integral_constantIbLb0EES1B_EEDaS16_S17_EUlS16_E_NS1_11comp_targetILNS1_3genE10ELNS1_11target_archE1200ELNS1_3gpuE4ELNS1_3repE0EEENS1_30default_config_static_selectorELNS0_4arch9wavefront6targetE0EEEvT1_,comdat
.Lfunc_end7:
	.size	_ZN7rocprim17ROCPRIM_400000_NS6detail17trampoline_kernelINS0_14default_configENS1_25partition_config_selectorILNS1_17partition_subalgoE5EiNS0_10empty_typeEbEEZZNS1_14partition_implILS5_5ELb0ES3_mN6thrust23THRUST_200600_302600_NS17counting_iteratorIiNSA_11use_defaultESC_SC_EEPS6_NSA_18transform_iteratorINSA_8identityIiEENSA_6detail15normal_iteratorINSA_10device_ptrIiEEEESC_SC_EENS0_5tupleIJSM_S6_EEENSO_IJSE_SE_EEES6_PlJS6_EEE10hipError_tPvRmT3_T4_T5_T6_T7_T9_mT8_P12ihipStream_tbDpT10_ENKUlT_T0_E_clISt17integral_constantIbLb0EES1B_EEDaS16_S17_EUlS16_E_NS1_11comp_targetILNS1_3genE10ELNS1_11target_archE1200ELNS1_3gpuE4ELNS1_3repE0EEENS1_30default_config_static_selectorELNS0_4arch9wavefront6targetE0EEEvT1_, .Lfunc_end7-_ZN7rocprim17ROCPRIM_400000_NS6detail17trampoline_kernelINS0_14default_configENS1_25partition_config_selectorILNS1_17partition_subalgoE5EiNS0_10empty_typeEbEEZZNS1_14partition_implILS5_5ELb0ES3_mN6thrust23THRUST_200600_302600_NS17counting_iteratorIiNSA_11use_defaultESC_SC_EEPS6_NSA_18transform_iteratorINSA_8identityIiEENSA_6detail15normal_iteratorINSA_10device_ptrIiEEEESC_SC_EENS0_5tupleIJSM_S6_EEENSO_IJSE_SE_EEES6_PlJS6_EEE10hipError_tPvRmT3_T4_T5_T6_T7_T9_mT8_P12ihipStream_tbDpT10_ENKUlT_T0_E_clISt17integral_constantIbLb0EES1B_EEDaS16_S17_EUlS16_E_NS1_11comp_targetILNS1_3genE10ELNS1_11target_archE1200ELNS1_3gpuE4ELNS1_3repE0EEENS1_30default_config_static_selectorELNS0_4arch9wavefront6targetE0EEEvT1_
                                        ; -- End function
	.set _ZN7rocprim17ROCPRIM_400000_NS6detail17trampoline_kernelINS0_14default_configENS1_25partition_config_selectorILNS1_17partition_subalgoE5EiNS0_10empty_typeEbEEZZNS1_14partition_implILS5_5ELb0ES3_mN6thrust23THRUST_200600_302600_NS17counting_iteratorIiNSA_11use_defaultESC_SC_EEPS6_NSA_18transform_iteratorINSA_8identityIiEENSA_6detail15normal_iteratorINSA_10device_ptrIiEEEESC_SC_EENS0_5tupleIJSM_S6_EEENSO_IJSE_SE_EEES6_PlJS6_EEE10hipError_tPvRmT3_T4_T5_T6_T7_T9_mT8_P12ihipStream_tbDpT10_ENKUlT_T0_E_clISt17integral_constantIbLb0EES1B_EEDaS16_S17_EUlS16_E_NS1_11comp_targetILNS1_3genE10ELNS1_11target_archE1200ELNS1_3gpuE4ELNS1_3repE0EEENS1_30default_config_static_selectorELNS0_4arch9wavefront6targetE0EEEvT1_.num_vgpr, 52
	.set _ZN7rocprim17ROCPRIM_400000_NS6detail17trampoline_kernelINS0_14default_configENS1_25partition_config_selectorILNS1_17partition_subalgoE5EiNS0_10empty_typeEbEEZZNS1_14partition_implILS5_5ELb0ES3_mN6thrust23THRUST_200600_302600_NS17counting_iteratorIiNSA_11use_defaultESC_SC_EEPS6_NSA_18transform_iteratorINSA_8identityIiEENSA_6detail15normal_iteratorINSA_10device_ptrIiEEEESC_SC_EENS0_5tupleIJSM_S6_EEENSO_IJSE_SE_EEES6_PlJS6_EEE10hipError_tPvRmT3_T4_T5_T6_T7_T9_mT8_P12ihipStream_tbDpT10_ENKUlT_T0_E_clISt17integral_constantIbLb0EES1B_EEDaS16_S17_EUlS16_E_NS1_11comp_targetILNS1_3genE10ELNS1_11target_archE1200ELNS1_3gpuE4ELNS1_3repE0EEENS1_30default_config_static_selectorELNS0_4arch9wavefront6targetE0EEEvT1_.num_agpr, 0
	.set _ZN7rocprim17ROCPRIM_400000_NS6detail17trampoline_kernelINS0_14default_configENS1_25partition_config_selectorILNS1_17partition_subalgoE5EiNS0_10empty_typeEbEEZZNS1_14partition_implILS5_5ELb0ES3_mN6thrust23THRUST_200600_302600_NS17counting_iteratorIiNSA_11use_defaultESC_SC_EEPS6_NSA_18transform_iteratorINSA_8identityIiEENSA_6detail15normal_iteratorINSA_10device_ptrIiEEEESC_SC_EENS0_5tupleIJSM_S6_EEENSO_IJSE_SE_EEES6_PlJS6_EEE10hipError_tPvRmT3_T4_T5_T6_T7_T9_mT8_P12ihipStream_tbDpT10_ENKUlT_T0_E_clISt17integral_constantIbLb0EES1B_EEDaS16_S17_EUlS16_E_NS1_11comp_targetILNS1_3genE10ELNS1_11target_archE1200ELNS1_3gpuE4ELNS1_3repE0EEENS1_30default_config_static_selectorELNS0_4arch9wavefront6targetE0EEEvT1_.numbered_sgpr, 18
	.set _ZN7rocprim17ROCPRIM_400000_NS6detail17trampoline_kernelINS0_14default_configENS1_25partition_config_selectorILNS1_17partition_subalgoE5EiNS0_10empty_typeEbEEZZNS1_14partition_implILS5_5ELb0ES3_mN6thrust23THRUST_200600_302600_NS17counting_iteratorIiNSA_11use_defaultESC_SC_EEPS6_NSA_18transform_iteratorINSA_8identityIiEENSA_6detail15normal_iteratorINSA_10device_ptrIiEEEESC_SC_EENS0_5tupleIJSM_S6_EEENSO_IJSE_SE_EEES6_PlJS6_EEE10hipError_tPvRmT3_T4_T5_T6_T7_T9_mT8_P12ihipStream_tbDpT10_ENKUlT_T0_E_clISt17integral_constantIbLb0EES1B_EEDaS16_S17_EUlS16_E_NS1_11comp_targetILNS1_3genE10ELNS1_11target_archE1200ELNS1_3gpuE4ELNS1_3repE0EEENS1_30default_config_static_selectorELNS0_4arch9wavefront6targetE0EEEvT1_.num_named_barrier, 0
	.set _ZN7rocprim17ROCPRIM_400000_NS6detail17trampoline_kernelINS0_14default_configENS1_25partition_config_selectorILNS1_17partition_subalgoE5EiNS0_10empty_typeEbEEZZNS1_14partition_implILS5_5ELb0ES3_mN6thrust23THRUST_200600_302600_NS17counting_iteratorIiNSA_11use_defaultESC_SC_EEPS6_NSA_18transform_iteratorINSA_8identityIiEENSA_6detail15normal_iteratorINSA_10device_ptrIiEEEESC_SC_EENS0_5tupleIJSM_S6_EEENSO_IJSE_SE_EEES6_PlJS6_EEE10hipError_tPvRmT3_T4_T5_T6_T7_T9_mT8_P12ihipStream_tbDpT10_ENKUlT_T0_E_clISt17integral_constantIbLb0EES1B_EEDaS16_S17_EUlS16_E_NS1_11comp_targetILNS1_3genE10ELNS1_11target_archE1200ELNS1_3gpuE4ELNS1_3repE0EEENS1_30default_config_static_selectorELNS0_4arch9wavefront6targetE0EEEvT1_.private_seg_size, 0
	.set _ZN7rocprim17ROCPRIM_400000_NS6detail17trampoline_kernelINS0_14default_configENS1_25partition_config_selectorILNS1_17partition_subalgoE5EiNS0_10empty_typeEbEEZZNS1_14partition_implILS5_5ELb0ES3_mN6thrust23THRUST_200600_302600_NS17counting_iteratorIiNSA_11use_defaultESC_SC_EEPS6_NSA_18transform_iteratorINSA_8identityIiEENSA_6detail15normal_iteratorINSA_10device_ptrIiEEEESC_SC_EENS0_5tupleIJSM_S6_EEENSO_IJSE_SE_EEES6_PlJS6_EEE10hipError_tPvRmT3_T4_T5_T6_T7_T9_mT8_P12ihipStream_tbDpT10_ENKUlT_T0_E_clISt17integral_constantIbLb0EES1B_EEDaS16_S17_EUlS16_E_NS1_11comp_targetILNS1_3genE10ELNS1_11target_archE1200ELNS1_3gpuE4ELNS1_3repE0EEENS1_30default_config_static_selectorELNS0_4arch9wavefront6targetE0EEEvT1_.uses_vcc, 1
	.set _ZN7rocprim17ROCPRIM_400000_NS6detail17trampoline_kernelINS0_14default_configENS1_25partition_config_selectorILNS1_17partition_subalgoE5EiNS0_10empty_typeEbEEZZNS1_14partition_implILS5_5ELb0ES3_mN6thrust23THRUST_200600_302600_NS17counting_iteratorIiNSA_11use_defaultESC_SC_EEPS6_NSA_18transform_iteratorINSA_8identityIiEENSA_6detail15normal_iteratorINSA_10device_ptrIiEEEESC_SC_EENS0_5tupleIJSM_S6_EEENSO_IJSE_SE_EEES6_PlJS6_EEE10hipError_tPvRmT3_T4_T5_T6_T7_T9_mT8_P12ihipStream_tbDpT10_ENKUlT_T0_E_clISt17integral_constantIbLb0EES1B_EEDaS16_S17_EUlS16_E_NS1_11comp_targetILNS1_3genE10ELNS1_11target_archE1200ELNS1_3gpuE4ELNS1_3repE0EEENS1_30default_config_static_selectorELNS0_4arch9wavefront6targetE0EEEvT1_.uses_flat_scratch, 0
	.set _ZN7rocprim17ROCPRIM_400000_NS6detail17trampoline_kernelINS0_14default_configENS1_25partition_config_selectorILNS1_17partition_subalgoE5EiNS0_10empty_typeEbEEZZNS1_14partition_implILS5_5ELb0ES3_mN6thrust23THRUST_200600_302600_NS17counting_iteratorIiNSA_11use_defaultESC_SC_EEPS6_NSA_18transform_iteratorINSA_8identityIiEENSA_6detail15normal_iteratorINSA_10device_ptrIiEEEESC_SC_EENS0_5tupleIJSM_S6_EEENSO_IJSE_SE_EEES6_PlJS6_EEE10hipError_tPvRmT3_T4_T5_T6_T7_T9_mT8_P12ihipStream_tbDpT10_ENKUlT_T0_E_clISt17integral_constantIbLb0EES1B_EEDaS16_S17_EUlS16_E_NS1_11comp_targetILNS1_3genE10ELNS1_11target_archE1200ELNS1_3gpuE4ELNS1_3repE0EEENS1_30default_config_static_selectorELNS0_4arch9wavefront6targetE0EEEvT1_.has_dyn_sized_stack, 0
	.set _ZN7rocprim17ROCPRIM_400000_NS6detail17trampoline_kernelINS0_14default_configENS1_25partition_config_selectorILNS1_17partition_subalgoE5EiNS0_10empty_typeEbEEZZNS1_14partition_implILS5_5ELb0ES3_mN6thrust23THRUST_200600_302600_NS17counting_iteratorIiNSA_11use_defaultESC_SC_EEPS6_NSA_18transform_iteratorINSA_8identityIiEENSA_6detail15normal_iteratorINSA_10device_ptrIiEEEESC_SC_EENS0_5tupleIJSM_S6_EEENSO_IJSE_SE_EEES6_PlJS6_EEE10hipError_tPvRmT3_T4_T5_T6_T7_T9_mT8_P12ihipStream_tbDpT10_ENKUlT_T0_E_clISt17integral_constantIbLb0EES1B_EEDaS16_S17_EUlS16_E_NS1_11comp_targetILNS1_3genE10ELNS1_11target_archE1200ELNS1_3gpuE4ELNS1_3repE0EEENS1_30default_config_static_selectorELNS0_4arch9wavefront6targetE0EEEvT1_.has_recursion, 0
	.set _ZN7rocprim17ROCPRIM_400000_NS6detail17trampoline_kernelINS0_14default_configENS1_25partition_config_selectorILNS1_17partition_subalgoE5EiNS0_10empty_typeEbEEZZNS1_14partition_implILS5_5ELb0ES3_mN6thrust23THRUST_200600_302600_NS17counting_iteratorIiNSA_11use_defaultESC_SC_EEPS6_NSA_18transform_iteratorINSA_8identityIiEENSA_6detail15normal_iteratorINSA_10device_ptrIiEEEESC_SC_EENS0_5tupleIJSM_S6_EEENSO_IJSE_SE_EEES6_PlJS6_EEE10hipError_tPvRmT3_T4_T5_T6_T7_T9_mT8_P12ihipStream_tbDpT10_ENKUlT_T0_E_clISt17integral_constantIbLb0EES1B_EEDaS16_S17_EUlS16_E_NS1_11comp_targetILNS1_3genE10ELNS1_11target_archE1200ELNS1_3gpuE4ELNS1_3repE0EEENS1_30default_config_static_selectorELNS0_4arch9wavefront6targetE0EEEvT1_.has_indirect_call, 0
	.section	.AMDGPU.csdata,"",@progbits
; Kernel info:
; codeLenInByte = 8664
; TotalNumSgprs: 20
; NumVgprs: 52
; ScratchSize: 0
; MemoryBound: 0
; FloatMode: 240
; IeeeMode: 1
; LDSByteSize: 6352 bytes/workgroup (compile time only)
; SGPRBlocks: 0
; VGPRBlocks: 6
; NumSGPRsForWavesPerEU: 20
; NumVGPRsForWavesPerEU: 52
; Occupancy: 15
; WaveLimiterHint : 1
; COMPUTE_PGM_RSRC2:SCRATCH_EN: 0
; COMPUTE_PGM_RSRC2:USER_SGPR: 2
; COMPUTE_PGM_RSRC2:TRAP_HANDLER: 0
; COMPUTE_PGM_RSRC2:TGID_X_EN: 1
; COMPUTE_PGM_RSRC2:TGID_Y_EN: 0
; COMPUTE_PGM_RSRC2:TGID_Z_EN: 0
; COMPUTE_PGM_RSRC2:TIDIG_COMP_CNT: 0
	.section	.text._ZN7rocprim17ROCPRIM_400000_NS6detail17trampoline_kernelINS0_14default_configENS1_25partition_config_selectorILNS1_17partition_subalgoE5EiNS0_10empty_typeEbEEZZNS1_14partition_implILS5_5ELb0ES3_mN6thrust23THRUST_200600_302600_NS17counting_iteratorIiNSA_11use_defaultESC_SC_EEPS6_NSA_18transform_iteratorINSA_8identityIiEENSA_6detail15normal_iteratorINSA_10device_ptrIiEEEESC_SC_EENS0_5tupleIJSM_S6_EEENSO_IJSE_SE_EEES6_PlJS6_EEE10hipError_tPvRmT3_T4_T5_T6_T7_T9_mT8_P12ihipStream_tbDpT10_ENKUlT_T0_E_clISt17integral_constantIbLb0EES1B_EEDaS16_S17_EUlS16_E_NS1_11comp_targetILNS1_3genE9ELNS1_11target_archE1100ELNS1_3gpuE3ELNS1_3repE0EEENS1_30default_config_static_selectorELNS0_4arch9wavefront6targetE0EEEvT1_,"axG",@progbits,_ZN7rocprim17ROCPRIM_400000_NS6detail17trampoline_kernelINS0_14default_configENS1_25partition_config_selectorILNS1_17partition_subalgoE5EiNS0_10empty_typeEbEEZZNS1_14partition_implILS5_5ELb0ES3_mN6thrust23THRUST_200600_302600_NS17counting_iteratorIiNSA_11use_defaultESC_SC_EEPS6_NSA_18transform_iteratorINSA_8identityIiEENSA_6detail15normal_iteratorINSA_10device_ptrIiEEEESC_SC_EENS0_5tupleIJSM_S6_EEENSO_IJSE_SE_EEES6_PlJS6_EEE10hipError_tPvRmT3_T4_T5_T6_T7_T9_mT8_P12ihipStream_tbDpT10_ENKUlT_T0_E_clISt17integral_constantIbLb0EES1B_EEDaS16_S17_EUlS16_E_NS1_11comp_targetILNS1_3genE9ELNS1_11target_archE1100ELNS1_3gpuE3ELNS1_3repE0EEENS1_30default_config_static_selectorELNS0_4arch9wavefront6targetE0EEEvT1_,comdat
	.protected	_ZN7rocprim17ROCPRIM_400000_NS6detail17trampoline_kernelINS0_14default_configENS1_25partition_config_selectorILNS1_17partition_subalgoE5EiNS0_10empty_typeEbEEZZNS1_14partition_implILS5_5ELb0ES3_mN6thrust23THRUST_200600_302600_NS17counting_iteratorIiNSA_11use_defaultESC_SC_EEPS6_NSA_18transform_iteratorINSA_8identityIiEENSA_6detail15normal_iteratorINSA_10device_ptrIiEEEESC_SC_EENS0_5tupleIJSM_S6_EEENSO_IJSE_SE_EEES6_PlJS6_EEE10hipError_tPvRmT3_T4_T5_T6_T7_T9_mT8_P12ihipStream_tbDpT10_ENKUlT_T0_E_clISt17integral_constantIbLb0EES1B_EEDaS16_S17_EUlS16_E_NS1_11comp_targetILNS1_3genE9ELNS1_11target_archE1100ELNS1_3gpuE3ELNS1_3repE0EEENS1_30default_config_static_selectorELNS0_4arch9wavefront6targetE0EEEvT1_ ; -- Begin function _ZN7rocprim17ROCPRIM_400000_NS6detail17trampoline_kernelINS0_14default_configENS1_25partition_config_selectorILNS1_17partition_subalgoE5EiNS0_10empty_typeEbEEZZNS1_14partition_implILS5_5ELb0ES3_mN6thrust23THRUST_200600_302600_NS17counting_iteratorIiNSA_11use_defaultESC_SC_EEPS6_NSA_18transform_iteratorINSA_8identityIiEENSA_6detail15normal_iteratorINSA_10device_ptrIiEEEESC_SC_EENS0_5tupleIJSM_S6_EEENSO_IJSE_SE_EEES6_PlJS6_EEE10hipError_tPvRmT3_T4_T5_T6_T7_T9_mT8_P12ihipStream_tbDpT10_ENKUlT_T0_E_clISt17integral_constantIbLb0EES1B_EEDaS16_S17_EUlS16_E_NS1_11comp_targetILNS1_3genE9ELNS1_11target_archE1100ELNS1_3gpuE3ELNS1_3repE0EEENS1_30default_config_static_selectorELNS0_4arch9wavefront6targetE0EEEvT1_
	.globl	_ZN7rocprim17ROCPRIM_400000_NS6detail17trampoline_kernelINS0_14default_configENS1_25partition_config_selectorILNS1_17partition_subalgoE5EiNS0_10empty_typeEbEEZZNS1_14partition_implILS5_5ELb0ES3_mN6thrust23THRUST_200600_302600_NS17counting_iteratorIiNSA_11use_defaultESC_SC_EEPS6_NSA_18transform_iteratorINSA_8identityIiEENSA_6detail15normal_iteratorINSA_10device_ptrIiEEEESC_SC_EENS0_5tupleIJSM_S6_EEENSO_IJSE_SE_EEES6_PlJS6_EEE10hipError_tPvRmT3_T4_T5_T6_T7_T9_mT8_P12ihipStream_tbDpT10_ENKUlT_T0_E_clISt17integral_constantIbLb0EES1B_EEDaS16_S17_EUlS16_E_NS1_11comp_targetILNS1_3genE9ELNS1_11target_archE1100ELNS1_3gpuE3ELNS1_3repE0EEENS1_30default_config_static_selectorELNS0_4arch9wavefront6targetE0EEEvT1_
	.p2align	8
	.type	_ZN7rocprim17ROCPRIM_400000_NS6detail17trampoline_kernelINS0_14default_configENS1_25partition_config_selectorILNS1_17partition_subalgoE5EiNS0_10empty_typeEbEEZZNS1_14partition_implILS5_5ELb0ES3_mN6thrust23THRUST_200600_302600_NS17counting_iteratorIiNSA_11use_defaultESC_SC_EEPS6_NSA_18transform_iteratorINSA_8identityIiEENSA_6detail15normal_iteratorINSA_10device_ptrIiEEEESC_SC_EENS0_5tupleIJSM_S6_EEENSO_IJSE_SE_EEES6_PlJS6_EEE10hipError_tPvRmT3_T4_T5_T6_T7_T9_mT8_P12ihipStream_tbDpT10_ENKUlT_T0_E_clISt17integral_constantIbLb0EES1B_EEDaS16_S17_EUlS16_E_NS1_11comp_targetILNS1_3genE9ELNS1_11target_archE1100ELNS1_3gpuE3ELNS1_3repE0EEENS1_30default_config_static_selectorELNS0_4arch9wavefront6targetE0EEEvT1_,@function
_ZN7rocprim17ROCPRIM_400000_NS6detail17trampoline_kernelINS0_14default_configENS1_25partition_config_selectorILNS1_17partition_subalgoE5EiNS0_10empty_typeEbEEZZNS1_14partition_implILS5_5ELb0ES3_mN6thrust23THRUST_200600_302600_NS17counting_iteratorIiNSA_11use_defaultESC_SC_EEPS6_NSA_18transform_iteratorINSA_8identityIiEENSA_6detail15normal_iteratorINSA_10device_ptrIiEEEESC_SC_EENS0_5tupleIJSM_S6_EEENSO_IJSE_SE_EEES6_PlJS6_EEE10hipError_tPvRmT3_T4_T5_T6_T7_T9_mT8_P12ihipStream_tbDpT10_ENKUlT_T0_E_clISt17integral_constantIbLb0EES1B_EEDaS16_S17_EUlS16_E_NS1_11comp_targetILNS1_3genE9ELNS1_11target_archE1100ELNS1_3gpuE3ELNS1_3repE0EEENS1_30default_config_static_selectorELNS0_4arch9wavefront6targetE0EEEvT1_: ; @_ZN7rocprim17ROCPRIM_400000_NS6detail17trampoline_kernelINS0_14default_configENS1_25partition_config_selectorILNS1_17partition_subalgoE5EiNS0_10empty_typeEbEEZZNS1_14partition_implILS5_5ELb0ES3_mN6thrust23THRUST_200600_302600_NS17counting_iteratorIiNSA_11use_defaultESC_SC_EEPS6_NSA_18transform_iteratorINSA_8identityIiEENSA_6detail15normal_iteratorINSA_10device_ptrIiEEEESC_SC_EENS0_5tupleIJSM_S6_EEENSO_IJSE_SE_EEES6_PlJS6_EEE10hipError_tPvRmT3_T4_T5_T6_T7_T9_mT8_P12ihipStream_tbDpT10_ENKUlT_T0_E_clISt17integral_constantIbLb0EES1B_EEDaS16_S17_EUlS16_E_NS1_11comp_targetILNS1_3genE9ELNS1_11target_archE1100ELNS1_3gpuE3ELNS1_3repE0EEENS1_30default_config_static_selectorELNS0_4arch9wavefront6targetE0EEEvT1_
; %bb.0:
	.section	.rodata,"a",@progbits
	.p2align	6, 0x0
	.amdhsa_kernel _ZN7rocprim17ROCPRIM_400000_NS6detail17trampoline_kernelINS0_14default_configENS1_25partition_config_selectorILNS1_17partition_subalgoE5EiNS0_10empty_typeEbEEZZNS1_14partition_implILS5_5ELb0ES3_mN6thrust23THRUST_200600_302600_NS17counting_iteratorIiNSA_11use_defaultESC_SC_EEPS6_NSA_18transform_iteratorINSA_8identityIiEENSA_6detail15normal_iteratorINSA_10device_ptrIiEEEESC_SC_EENS0_5tupleIJSM_S6_EEENSO_IJSE_SE_EEES6_PlJS6_EEE10hipError_tPvRmT3_T4_T5_T6_T7_T9_mT8_P12ihipStream_tbDpT10_ENKUlT_T0_E_clISt17integral_constantIbLb0EES1B_EEDaS16_S17_EUlS16_E_NS1_11comp_targetILNS1_3genE9ELNS1_11target_archE1100ELNS1_3gpuE3ELNS1_3repE0EEENS1_30default_config_static_selectorELNS0_4arch9wavefront6targetE0EEEvT1_
		.amdhsa_group_segment_fixed_size 0
		.amdhsa_private_segment_fixed_size 0
		.amdhsa_kernarg_size 120
		.amdhsa_user_sgpr_count 2
		.amdhsa_user_sgpr_dispatch_ptr 0
		.amdhsa_user_sgpr_queue_ptr 0
		.amdhsa_user_sgpr_kernarg_segment_ptr 1
		.amdhsa_user_sgpr_dispatch_id 0
		.amdhsa_user_sgpr_private_segment_size 0
		.amdhsa_wavefront_size32 1
		.amdhsa_uses_dynamic_stack 0
		.amdhsa_enable_private_segment 0
		.amdhsa_system_sgpr_workgroup_id_x 1
		.amdhsa_system_sgpr_workgroup_id_y 0
		.amdhsa_system_sgpr_workgroup_id_z 0
		.amdhsa_system_sgpr_workgroup_info 0
		.amdhsa_system_vgpr_workitem_id 0
		.amdhsa_next_free_vgpr 1
		.amdhsa_next_free_sgpr 1
		.amdhsa_reserve_vcc 0
		.amdhsa_float_round_mode_32 0
		.amdhsa_float_round_mode_16_64 0
		.amdhsa_float_denorm_mode_32 3
		.amdhsa_float_denorm_mode_16_64 3
		.amdhsa_fp16_overflow 0
		.amdhsa_workgroup_processor_mode 1
		.amdhsa_memory_ordered 1
		.amdhsa_forward_progress 1
		.amdhsa_inst_pref_size 0
		.amdhsa_round_robin_scheduling 0
		.amdhsa_exception_fp_ieee_invalid_op 0
		.amdhsa_exception_fp_denorm_src 0
		.amdhsa_exception_fp_ieee_div_zero 0
		.amdhsa_exception_fp_ieee_overflow 0
		.amdhsa_exception_fp_ieee_underflow 0
		.amdhsa_exception_fp_ieee_inexact 0
		.amdhsa_exception_int_div_zero 0
	.end_amdhsa_kernel
	.section	.text._ZN7rocprim17ROCPRIM_400000_NS6detail17trampoline_kernelINS0_14default_configENS1_25partition_config_selectorILNS1_17partition_subalgoE5EiNS0_10empty_typeEbEEZZNS1_14partition_implILS5_5ELb0ES3_mN6thrust23THRUST_200600_302600_NS17counting_iteratorIiNSA_11use_defaultESC_SC_EEPS6_NSA_18transform_iteratorINSA_8identityIiEENSA_6detail15normal_iteratorINSA_10device_ptrIiEEEESC_SC_EENS0_5tupleIJSM_S6_EEENSO_IJSE_SE_EEES6_PlJS6_EEE10hipError_tPvRmT3_T4_T5_T6_T7_T9_mT8_P12ihipStream_tbDpT10_ENKUlT_T0_E_clISt17integral_constantIbLb0EES1B_EEDaS16_S17_EUlS16_E_NS1_11comp_targetILNS1_3genE9ELNS1_11target_archE1100ELNS1_3gpuE3ELNS1_3repE0EEENS1_30default_config_static_selectorELNS0_4arch9wavefront6targetE0EEEvT1_,"axG",@progbits,_ZN7rocprim17ROCPRIM_400000_NS6detail17trampoline_kernelINS0_14default_configENS1_25partition_config_selectorILNS1_17partition_subalgoE5EiNS0_10empty_typeEbEEZZNS1_14partition_implILS5_5ELb0ES3_mN6thrust23THRUST_200600_302600_NS17counting_iteratorIiNSA_11use_defaultESC_SC_EEPS6_NSA_18transform_iteratorINSA_8identityIiEENSA_6detail15normal_iteratorINSA_10device_ptrIiEEEESC_SC_EENS0_5tupleIJSM_S6_EEENSO_IJSE_SE_EEES6_PlJS6_EEE10hipError_tPvRmT3_T4_T5_T6_T7_T9_mT8_P12ihipStream_tbDpT10_ENKUlT_T0_E_clISt17integral_constantIbLb0EES1B_EEDaS16_S17_EUlS16_E_NS1_11comp_targetILNS1_3genE9ELNS1_11target_archE1100ELNS1_3gpuE3ELNS1_3repE0EEENS1_30default_config_static_selectorELNS0_4arch9wavefront6targetE0EEEvT1_,comdat
.Lfunc_end8:
	.size	_ZN7rocprim17ROCPRIM_400000_NS6detail17trampoline_kernelINS0_14default_configENS1_25partition_config_selectorILNS1_17partition_subalgoE5EiNS0_10empty_typeEbEEZZNS1_14partition_implILS5_5ELb0ES3_mN6thrust23THRUST_200600_302600_NS17counting_iteratorIiNSA_11use_defaultESC_SC_EEPS6_NSA_18transform_iteratorINSA_8identityIiEENSA_6detail15normal_iteratorINSA_10device_ptrIiEEEESC_SC_EENS0_5tupleIJSM_S6_EEENSO_IJSE_SE_EEES6_PlJS6_EEE10hipError_tPvRmT3_T4_T5_T6_T7_T9_mT8_P12ihipStream_tbDpT10_ENKUlT_T0_E_clISt17integral_constantIbLb0EES1B_EEDaS16_S17_EUlS16_E_NS1_11comp_targetILNS1_3genE9ELNS1_11target_archE1100ELNS1_3gpuE3ELNS1_3repE0EEENS1_30default_config_static_selectorELNS0_4arch9wavefront6targetE0EEEvT1_, .Lfunc_end8-_ZN7rocprim17ROCPRIM_400000_NS6detail17trampoline_kernelINS0_14default_configENS1_25partition_config_selectorILNS1_17partition_subalgoE5EiNS0_10empty_typeEbEEZZNS1_14partition_implILS5_5ELb0ES3_mN6thrust23THRUST_200600_302600_NS17counting_iteratorIiNSA_11use_defaultESC_SC_EEPS6_NSA_18transform_iteratorINSA_8identityIiEENSA_6detail15normal_iteratorINSA_10device_ptrIiEEEESC_SC_EENS0_5tupleIJSM_S6_EEENSO_IJSE_SE_EEES6_PlJS6_EEE10hipError_tPvRmT3_T4_T5_T6_T7_T9_mT8_P12ihipStream_tbDpT10_ENKUlT_T0_E_clISt17integral_constantIbLb0EES1B_EEDaS16_S17_EUlS16_E_NS1_11comp_targetILNS1_3genE9ELNS1_11target_archE1100ELNS1_3gpuE3ELNS1_3repE0EEENS1_30default_config_static_selectorELNS0_4arch9wavefront6targetE0EEEvT1_
                                        ; -- End function
	.set _ZN7rocprim17ROCPRIM_400000_NS6detail17trampoline_kernelINS0_14default_configENS1_25partition_config_selectorILNS1_17partition_subalgoE5EiNS0_10empty_typeEbEEZZNS1_14partition_implILS5_5ELb0ES3_mN6thrust23THRUST_200600_302600_NS17counting_iteratorIiNSA_11use_defaultESC_SC_EEPS6_NSA_18transform_iteratorINSA_8identityIiEENSA_6detail15normal_iteratorINSA_10device_ptrIiEEEESC_SC_EENS0_5tupleIJSM_S6_EEENSO_IJSE_SE_EEES6_PlJS6_EEE10hipError_tPvRmT3_T4_T5_T6_T7_T9_mT8_P12ihipStream_tbDpT10_ENKUlT_T0_E_clISt17integral_constantIbLb0EES1B_EEDaS16_S17_EUlS16_E_NS1_11comp_targetILNS1_3genE9ELNS1_11target_archE1100ELNS1_3gpuE3ELNS1_3repE0EEENS1_30default_config_static_selectorELNS0_4arch9wavefront6targetE0EEEvT1_.num_vgpr, 0
	.set _ZN7rocprim17ROCPRIM_400000_NS6detail17trampoline_kernelINS0_14default_configENS1_25partition_config_selectorILNS1_17partition_subalgoE5EiNS0_10empty_typeEbEEZZNS1_14partition_implILS5_5ELb0ES3_mN6thrust23THRUST_200600_302600_NS17counting_iteratorIiNSA_11use_defaultESC_SC_EEPS6_NSA_18transform_iteratorINSA_8identityIiEENSA_6detail15normal_iteratorINSA_10device_ptrIiEEEESC_SC_EENS0_5tupleIJSM_S6_EEENSO_IJSE_SE_EEES6_PlJS6_EEE10hipError_tPvRmT3_T4_T5_T6_T7_T9_mT8_P12ihipStream_tbDpT10_ENKUlT_T0_E_clISt17integral_constantIbLb0EES1B_EEDaS16_S17_EUlS16_E_NS1_11comp_targetILNS1_3genE9ELNS1_11target_archE1100ELNS1_3gpuE3ELNS1_3repE0EEENS1_30default_config_static_selectorELNS0_4arch9wavefront6targetE0EEEvT1_.num_agpr, 0
	.set _ZN7rocprim17ROCPRIM_400000_NS6detail17trampoline_kernelINS0_14default_configENS1_25partition_config_selectorILNS1_17partition_subalgoE5EiNS0_10empty_typeEbEEZZNS1_14partition_implILS5_5ELb0ES3_mN6thrust23THRUST_200600_302600_NS17counting_iteratorIiNSA_11use_defaultESC_SC_EEPS6_NSA_18transform_iteratorINSA_8identityIiEENSA_6detail15normal_iteratorINSA_10device_ptrIiEEEESC_SC_EENS0_5tupleIJSM_S6_EEENSO_IJSE_SE_EEES6_PlJS6_EEE10hipError_tPvRmT3_T4_T5_T6_T7_T9_mT8_P12ihipStream_tbDpT10_ENKUlT_T0_E_clISt17integral_constantIbLb0EES1B_EEDaS16_S17_EUlS16_E_NS1_11comp_targetILNS1_3genE9ELNS1_11target_archE1100ELNS1_3gpuE3ELNS1_3repE0EEENS1_30default_config_static_selectorELNS0_4arch9wavefront6targetE0EEEvT1_.numbered_sgpr, 0
	.set _ZN7rocprim17ROCPRIM_400000_NS6detail17trampoline_kernelINS0_14default_configENS1_25partition_config_selectorILNS1_17partition_subalgoE5EiNS0_10empty_typeEbEEZZNS1_14partition_implILS5_5ELb0ES3_mN6thrust23THRUST_200600_302600_NS17counting_iteratorIiNSA_11use_defaultESC_SC_EEPS6_NSA_18transform_iteratorINSA_8identityIiEENSA_6detail15normal_iteratorINSA_10device_ptrIiEEEESC_SC_EENS0_5tupleIJSM_S6_EEENSO_IJSE_SE_EEES6_PlJS6_EEE10hipError_tPvRmT3_T4_T5_T6_T7_T9_mT8_P12ihipStream_tbDpT10_ENKUlT_T0_E_clISt17integral_constantIbLb0EES1B_EEDaS16_S17_EUlS16_E_NS1_11comp_targetILNS1_3genE9ELNS1_11target_archE1100ELNS1_3gpuE3ELNS1_3repE0EEENS1_30default_config_static_selectorELNS0_4arch9wavefront6targetE0EEEvT1_.num_named_barrier, 0
	.set _ZN7rocprim17ROCPRIM_400000_NS6detail17trampoline_kernelINS0_14default_configENS1_25partition_config_selectorILNS1_17partition_subalgoE5EiNS0_10empty_typeEbEEZZNS1_14partition_implILS5_5ELb0ES3_mN6thrust23THRUST_200600_302600_NS17counting_iteratorIiNSA_11use_defaultESC_SC_EEPS6_NSA_18transform_iteratorINSA_8identityIiEENSA_6detail15normal_iteratorINSA_10device_ptrIiEEEESC_SC_EENS0_5tupleIJSM_S6_EEENSO_IJSE_SE_EEES6_PlJS6_EEE10hipError_tPvRmT3_T4_T5_T6_T7_T9_mT8_P12ihipStream_tbDpT10_ENKUlT_T0_E_clISt17integral_constantIbLb0EES1B_EEDaS16_S17_EUlS16_E_NS1_11comp_targetILNS1_3genE9ELNS1_11target_archE1100ELNS1_3gpuE3ELNS1_3repE0EEENS1_30default_config_static_selectorELNS0_4arch9wavefront6targetE0EEEvT1_.private_seg_size, 0
	.set _ZN7rocprim17ROCPRIM_400000_NS6detail17trampoline_kernelINS0_14default_configENS1_25partition_config_selectorILNS1_17partition_subalgoE5EiNS0_10empty_typeEbEEZZNS1_14partition_implILS5_5ELb0ES3_mN6thrust23THRUST_200600_302600_NS17counting_iteratorIiNSA_11use_defaultESC_SC_EEPS6_NSA_18transform_iteratorINSA_8identityIiEENSA_6detail15normal_iteratorINSA_10device_ptrIiEEEESC_SC_EENS0_5tupleIJSM_S6_EEENSO_IJSE_SE_EEES6_PlJS6_EEE10hipError_tPvRmT3_T4_T5_T6_T7_T9_mT8_P12ihipStream_tbDpT10_ENKUlT_T0_E_clISt17integral_constantIbLb0EES1B_EEDaS16_S17_EUlS16_E_NS1_11comp_targetILNS1_3genE9ELNS1_11target_archE1100ELNS1_3gpuE3ELNS1_3repE0EEENS1_30default_config_static_selectorELNS0_4arch9wavefront6targetE0EEEvT1_.uses_vcc, 0
	.set _ZN7rocprim17ROCPRIM_400000_NS6detail17trampoline_kernelINS0_14default_configENS1_25partition_config_selectorILNS1_17partition_subalgoE5EiNS0_10empty_typeEbEEZZNS1_14partition_implILS5_5ELb0ES3_mN6thrust23THRUST_200600_302600_NS17counting_iteratorIiNSA_11use_defaultESC_SC_EEPS6_NSA_18transform_iteratorINSA_8identityIiEENSA_6detail15normal_iteratorINSA_10device_ptrIiEEEESC_SC_EENS0_5tupleIJSM_S6_EEENSO_IJSE_SE_EEES6_PlJS6_EEE10hipError_tPvRmT3_T4_T5_T6_T7_T9_mT8_P12ihipStream_tbDpT10_ENKUlT_T0_E_clISt17integral_constantIbLb0EES1B_EEDaS16_S17_EUlS16_E_NS1_11comp_targetILNS1_3genE9ELNS1_11target_archE1100ELNS1_3gpuE3ELNS1_3repE0EEENS1_30default_config_static_selectorELNS0_4arch9wavefront6targetE0EEEvT1_.uses_flat_scratch, 0
	.set _ZN7rocprim17ROCPRIM_400000_NS6detail17trampoline_kernelINS0_14default_configENS1_25partition_config_selectorILNS1_17partition_subalgoE5EiNS0_10empty_typeEbEEZZNS1_14partition_implILS5_5ELb0ES3_mN6thrust23THRUST_200600_302600_NS17counting_iteratorIiNSA_11use_defaultESC_SC_EEPS6_NSA_18transform_iteratorINSA_8identityIiEENSA_6detail15normal_iteratorINSA_10device_ptrIiEEEESC_SC_EENS0_5tupleIJSM_S6_EEENSO_IJSE_SE_EEES6_PlJS6_EEE10hipError_tPvRmT3_T4_T5_T6_T7_T9_mT8_P12ihipStream_tbDpT10_ENKUlT_T0_E_clISt17integral_constantIbLb0EES1B_EEDaS16_S17_EUlS16_E_NS1_11comp_targetILNS1_3genE9ELNS1_11target_archE1100ELNS1_3gpuE3ELNS1_3repE0EEENS1_30default_config_static_selectorELNS0_4arch9wavefront6targetE0EEEvT1_.has_dyn_sized_stack, 0
	.set _ZN7rocprim17ROCPRIM_400000_NS6detail17trampoline_kernelINS0_14default_configENS1_25partition_config_selectorILNS1_17partition_subalgoE5EiNS0_10empty_typeEbEEZZNS1_14partition_implILS5_5ELb0ES3_mN6thrust23THRUST_200600_302600_NS17counting_iteratorIiNSA_11use_defaultESC_SC_EEPS6_NSA_18transform_iteratorINSA_8identityIiEENSA_6detail15normal_iteratorINSA_10device_ptrIiEEEESC_SC_EENS0_5tupleIJSM_S6_EEENSO_IJSE_SE_EEES6_PlJS6_EEE10hipError_tPvRmT3_T4_T5_T6_T7_T9_mT8_P12ihipStream_tbDpT10_ENKUlT_T0_E_clISt17integral_constantIbLb0EES1B_EEDaS16_S17_EUlS16_E_NS1_11comp_targetILNS1_3genE9ELNS1_11target_archE1100ELNS1_3gpuE3ELNS1_3repE0EEENS1_30default_config_static_selectorELNS0_4arch9wavefront6targetE0EEEvT1_.has_recursion, 0
	.set _ZN7rocprim17ROCPRIM_400000_NS6detail17trampoline_kernelINS0_14default_configENS1_25partition_config_selectorILNS1_17partition_subalgoE5EiNS0_10empty_typeEbEEZZNS1_14partition_implILS5_5ELb0ES3_mN6thrust23THRUST_200600_302600_NS17counting_iteratorIiNSA_11use_defaultESC_SC_EEPS6_NSA_18transform_iteratorINSA_8identityIiEENSA_6detail15normal_iteratorINSA_10device_ptrIiEEEESC_SC_EENS0_5tupleIJSM_S6_EEENSO_IJSE_SE_EEES6_PlJS6_EEE10hipError_tPvRmT3_T4_T5_T6_T7_T9_mT8_P12ihipStream_tbDpT10_ENKUlT_T0_E_clISt17integral_constantIbLb0EES1B_EEDaS16_S17_EUlS16_E_NS1_11comp_targetILNS1_3genE9ELNS1_11target_archE1100ELNS1_3gpuE3ELNS1_3repE0EEENS1_30default_config_static_selectorELNS0_4arch9wavefront6targetE0EEEvT1_.has_indirect_call, 0
	.section	.AMDGPU.csdata,"",@progbits
; Kernel info:
; codeLenInByte = 0
; TotalNumSgprs: 0
; NumVgprs: 0
; ScratchSize: 0
; MemoryBound: 0
; FloatMode: 240
; IeeeMode: 1
; LDSByteSize: 0 bytes/workgroup (compile time only)
; SGPRBlocks: 0
; VGPRBlocks: 0
; NumSGPRsForWavesPerEU: 1
; NumVGPRsForWavesPerEU: 1
; Occupancy: 16
; WaveLimiterHint : 0
; COMPUTE_PGM_RSRC2:SCRATCH_EN: 0
; COMPUTE_PGM_RSRC2:USER_SGPR: 2
; COMPUTE_PGM_RSRC2:TRAP_HANDLER: 0
; COMPUTE_PGM_RSRC2:TGID_X_EN: 1
; COMPUTE_PGM_RSRC2:TGID_Y_EN: 0
; COMPUTE_PGM_RSRC2:TGID_Z_EN: 0
; COMPUTE_PGM_RSRC2:TIDIG_COMP_CNT: 0
	.section	.text._ZN7rocprim17ROCPRIM_400000_NS6detail17trampoline_kernelINS0_14default_configENS1_25partition_config_selectorILNS1_17partition_subalgoE5EiNS0_10empty_typeEbEEZZNS1_14partition_implILS5_5ELb0ES3_mN6thrust23THRUST_200600_302600_NS17counting_iteratorIiNSA_11use_defaultESC_SC_EEPS6_NSA_18transform_iteratorINSA_8identityIiEENSA_6detail15normal_iteratorINSA_10device_ptrIiEEEESC_SC_EENS0_5tupleIJSM_S6_EEENSO_IJSE_SE_EEES6_PlJS6_EEE10hipError_tPvRmT3_T4_T5_T6_T7_T9_mT8_P12ihipStream_tbDpT10_ENKUlT_T0_E_clISt17integral_constantIbLb0EES1B_EEDaS16_S17_EUlS16_E_NS1_11comp_targetILNS1_3genE8ELNS1_11target_archE1030ELNS1_3gpuE2ELNS1_3repE0EEENS1_30default_config_static_selectorELNS0_4arch9wavefront6targetE0EEEvT1_,"axG",@progbits,_ZN7rocprim17ROCPRIM_400000_NS6detail17trampoline_kernelINS0_14default_configENS1_25partition_config_selectorILNS1_17partition_subalgoE5EiNS0_10empty_typeEbEEZZNS1_14partition_implILS5_5ELb0ES3_mN6thrust23THRUST_200600_302600_NS17counting_iteratorIiNSA_11use_defaultESC_SC_EEPS6_NSA_18transform_iteratorINSA_8identityIiEENSA_6detail15normal_iteratorINSA_10device_ptrIiEEEESC_SC_EENS0_5tupleIJSM_S6_EEENSO_IJSE_SE_EEES6_PlJS6_EEE10hipError_tPvRmT3_T4_T5_T6_T7_T9_mT8_P12ihipStream_tbDpT10_ENKUlT_T0_E_clISt17integral_constantIbLb0EES1B_EEDaS16_S17_EUlS16_E_NS1_11comp_targetILNS1_3genE8ELNS1_11target_archE1030ELNS1_3gpuE2ELNS1_3repE0EEENS1_30default_config_static_selectorELNS0_4arch9wavefront6targetE0EEEvT1_,comdat
	.protected	_ZN7rocprim17ROCPRIM_400000_NS6detail17trampoline_kernelINS0_14default_configENS1_25partition_config_selectorILNS1_17partition_subalgoE5EiNS0_10empty_typeEbEEZZNS1_14partition_implILS5_5ELb0ES3_mN6thrust23THRUST_200600_302600_NS17counting_iteratorIiNSA_11use_defaultESC_SC_EEPS6_NSA_18transform_iteratorINSA_8identityIiEENSA_6detail15normal_iteratorINSA_10device_ptrIiEEEESC_SC_EENS0_5tupleIJSM_S6_EEENSO_IJSE_SE_EEES6_PlJS6_EEE10hipError_tPvRmT3_T4_T5_T6_T7_T9_mT8_P12ihipStream_tbDpT10_ENKUlT_T0_E_clISt17integral_constantIbLb0EES1B_EEDaS16_S17_EUlS16_E_NS1_11comp_targetILNS1_3genE8ELNS1_11target_archE1030ELNS1_3gpuE2ELNS1_3repE0EEENS1_30default_config_static_selectorELNS0_4arch9wavefront6targetE0EEEvT1_ ; -- Begin function _ZN7rocprim17ROCPRIM_400000_NS6detail17trampoline_kernelINS0_14default_configENS1_25partition_config_selectorILNS1_17partition_subalgoE5EiNS0_10empty_typeEbEEZZNS1_14partition_implILS5_5ELb0ES3_mN6thrust23THRUST_200600_302600_NS17counting_iteratorIiNSA_11use_defaultESC_SC_EEPS6_NSA_18transform_iteratorINSA_8identityIiEENSA_6detail15normal_iteratorINSA_10device_ptrIiEEEESC_SC_EENS0_5tupleIJSM_S6_EEENSO_IJSE_SE_EEES6_PlJS6_EEE10hipError_tPvRmT3_T4_T5_T6_T7_T9_mT8_P12ihipStream_tbDpT10_ENKUlT_T0_E_clISt17integral_constantIbLb0EES1B_EEDaS16_S17_EUlS16_E_NS1_11comp_targetILNS1_3genE8ELNS1_11target_archE1030ELNS1_3gpuE2ELNS1_3repE0EEENS1_30default_config_static_selectorELNS0_4arch9wavefront6targetE0EEEvT1_
	.globl	_ZN7rocprim17ROCPRIM_400000_NS6detail17trampoline_kernelINS0_14default_configENS1_25partition_config_selectorILNS1_17partition_subalgoE5EiNS0_10empty_typeEbEEZZNS1_14partition_implILS5_5ELb0ES3_mN6thrust23THRUST_200600_302600_NS17counting_iteratorIiNSA_11use_defaultESC_SC_EEPS6_NSA_18transform_iteratorINSA_8identityIiEENSA_6detail15normal_iteratorINSA_10device_ptrIiEEEESC_SC_EENS0_5tupleIJSM_S6_EEENSO_IJSE_SE_EEES6_PlJS6_EEE10hipError_tPvRmT3_T4_T5_T6_T7_T9_mT8_P12ihipStream_tbDpT10_ENKUlT_T0_E_clISt17integral_constantIbLb0EES1B_EEDaS16_S17_EUlS16_E_NS1_11comp_targetILNS1_3genE8ELNS1_11target_archE1030ELNS1_3gpuE2ELNS1_3repE0EEENS1_30default_config_static_selectorELNS0_4arch9wavefront6targetE0EEEvT1_
	.p2align	8
	.type	_ZN7rocprim17ROCPRIM_400000_NS6detail17trampoline_kernelINS0_14default_configENS1_25partition_config_selectorILNS1_17partition_subalgoE5EiNS0_10empty_typeEbEEZZNS1_14partition_implILS5_5ELb0ES3_mN6thrust23THRUST_200600_302600_NS17counting_iteratorIiNSA_11use_defaultESC_SC_EEPS6_NSA_18transform_iteratorINSA_8identityIiEENSA_6detail15normal_iteratorINSA_10device_ptrIiEEEESC_SC_EENS0_5tupleIJSM_S6_EEENSO_IJSE_SE_EEES6_PlJS6_EEE10hipError_tPvRmT3_T4_T5_T6_T7_T9_mT8_P12ihipStream_tbDpT10_ENKUlT_T0_E_clISt17integral_constantIbLb0EES1B_EEDaS16_S17_EUlS16_E_NS1_11comp_targetILNS1_3genE8ELNS1_11target_archE1030ELNS1_3gpuE2ELNS1_3repE0EEENS1_30default_config_static_selectorELNS0_4arch9wavefront6targetE0EEEvT1_,@function
_ZN7rocprim17ROCPRIM_400000_NS6detail17trampoline_kernelINS0_14default_configENS1_25partition_config_selectorILNS1_17partition_subalgoE5EiNS0_10empty_typeEbEEZZNS1_14partition_implILS5_5ELb0ES3_mN6thrust23THRUST_200600_302600_NS17counting_iteratorIiNSA_11use_defaultESC_SC_EEPS6_NSA_18transform_iteratorINSA_8identityIiEENSA_6detail15normal_iteratorINSA_10device_ptrIiEEEESC_SC_EENS0_5tupleIJSM_S6_EEENSO_IJSE_SE_EEES6_PlJS6_EEE10hipError_tPvRmT3_T4_T5_T6_T7_T9_mT8_P12ihipStream_tbDpT10_ENKUlT_T0_E_clISt17integral_constantIbLb0EES1B_EEDaS16_S17_EUlS16_E_NS1_11comp_targetILNS1_3genE8ELNS1_11target_archE1030ELNS1_3gpuE2ELNS1_3repE0EEENS1_30default_config_static_selectorELNS0_4arch9wavefront6targetE0EEEvT1_: ; @_ZN7rocprim17ROCPRIM_400000_NS6detail17trampoline_kernelINS0_14default_configENS1_25partition_config_selectorILNS1_17partition_subalgoE5EiNS0_10empty_typeEbEEZZNS1_14partition_implILS5_5ELb0ES3_mN6thrust23THRUST_200600_302600_NS17counting_iteratorIiNSA_11use_defaultESC_SC_EEPS6_NSA_18transform_iteratorINSA_8identityIiEENSA_6detail15normal_iteratorINSA_10device_ptrIiEEEESC_SC_EENS0_5tupleIJSM_S6_EEENSO_IJSE_SE_EEES6_PlJS6_EEE10hipError_tPvRmT3_T4_T5_T6_T7_T9_mT8_P12ihipStream_tbDpT10_ENKUlT_T0_E_clISt17integral_constantIbLb0EES1B_EEDaS16_S17_EUlS16_E_NS1_11comp_targetILNS1_3genE8ELNS1_11target_archE1030ELNS1_3gpuE2ELNS1_3repE0EEENS1_30default_config_static_selectorELNS0_4arch9wavefront6targetE0EEEvT1_
; %bb.0:
	.section	.rodata,"a",@progbits
	.p2align	6, 0x0
	.amdhsa_kernel _ZN7rocprim17ROCPRIM_400000_NS6detail17trampoline_kernelINS0_14default_configENS1_25partition_config_selectorILNS1_17partition_subalgoE5EiNS0_10empty_typeEbEEZZNS1_14partition_implILS5_5ELb0ES3_mN6thrust23THRUST_200600_302600_NS17counting_iteratorIiNSA_11use_defaultESC_SC_EEPS6_NSA_18transform_iteratorINSA_8identityIiEENSA_6detail15normal_iteratorINSA_10device_ptrIiEEEESC_SC_EENS0_5tupleIJSM_S6_EEENSO_IJSE_SE_EEES6_PlJS6_EEE10hipError_tPvRmT3_T4_T5_T6_T7_T9_mT8_P12ihipStream_tbDpT10_ENKUlT_T0_E_clISt17integral_constantIbLb0EES1B_EEDaS16_S17_EUlS16_E_NS1_11comp_targetILNS1_3genE8ELNS1_11target_archE1030ELNS1_3gpuE2ELNS1_3repE0EEENS1_30default_config_static_selectorELNS0_4arch9wavefront6targetE0EEEvT1_
		.amdhsa_group_segment_fixed_size 0
		.amdhsa_private_segment_fixed_size 0
		.amdhsa_kernarg_size 120
		.amdhsa_user_sgpr_count 2
		.amdhsa_user_sgpr_dispatch_ptr 0
		.amdhsa_user_sgpr_queue_ptr 0
		.amdhsa_user_sgpr_kernarg_segment_ptr 1
		.amdhsa_user_sgpr_dispatch_id 0
		.amdhsa_user_sgpr_private_segment_size 0
		.amdhsa_wavefront_size32 1
		.amdhsa_uses_dynamic_stack 0
		.amdhsa_enable_private_segment 0
		.amdhsa_system_sgpr_workgroup_id_x 1
		.amdhsa_system_sgpr_workgroup_id_y 0
		.amdhsa_system_sgpr_workgroup_id_z 0
		.amdhsa_system_sgpr_workgroup_info 0
		.amdhsa_system_vgpr_workitem_id 0
		.amdhsa_next_free_vgpr 1
		.amdhsa_next_free_sgpr 1
		.amdhsa_reserve_vcc 0
		.amdhsa_float_round_mode_32 0
		.amdhsa_float_round_mode_16_64 0
		.amdhsa_float_denorm_mode_32 3
		.amdhsa_float_denorm_mode_16_64 3
		.amdhsa_fp16_overflow 0
		.amdhsa_workgroup_processor_mode 1
		.amdhsa_memory_ordered 1
		.amdhsa_forward_progress 1
		.amdhsa_inst_pref_size 0
		.amdhsa_round_robin_scheduling 0
		.amdhsa_exception_fp_ieee_invalid_op 0
		.amdhsa_exception_fp_denorm_src 0
		.amdhsa_exception_fp_ieee_div_zero 0
		.amdhsa_exception_fp_ieee_overflow 0
		.amdhsa_exception_fp_ieee_underflow 0
		.amdhsa_exception_fp_ieee_inexact 0
		.amdhsa_exception_int_div_zero 0
	.end_amdhsa_kernel
	.section	.text._ZN7rocprim17ROCPRIM_400000_NS6detail17trampoline_kernelINS0_14default_configENS1_25partition_config_selectorILNS1_17partition_subalgoE5EiNS0_10empty_typeEbEEZZNS1_14partition_implILS5_5ELb0ES3_mN6thrust23THRUST_200600_302600_NS17counting_iteratorIiNSA_11use_defaultESC_SC_EEPS6_NSA_18transform_iteratorINSA_8identityIiEENSA_6detail15normal_iteratorINSA_10device_ptrIiEEEESC_SC_EENS0_5tupleIJSM_S6_EEENSO_IJSE_SE_EEES6_PlJS6_EEE10hipError_tPvRmT3_T4_T5_T6_T7_T9_mT8_P12ihipStream_tbDpT10_ENKUlT_T0_E_clISt17integral_constantIbLb0EES1B_EEDaS16_S17_EUlS16_E_NS1_11comp_targetILNS1_3genE8ELNS1_11target_archE1030ELNS1_3gpuE2ELNS1_3repE0EEENS1_30default_config_static_selectorELNS0_4arch9wavefront6targetE0EEEvT1_,"axG",@progbits,_ZN7rocprim17ROCPRIM_400000_NS6detail17trampoline_kernelINS0_14default_configENS1_25partition_config_selectorILNS1_17partition_subalgoE5EiNS0_10empty_typeEbEEZZNS1_14partition_implILS5_5ELb0ES3_mN6thrust23THRUST_200600_302600_NS17counting_iteratorIiNSA_11use_defaultESC_SC_EEPS6_NSA_18transform_iteratorINSA_8identityIiEENSA_6detail15normal_iteratorINSA_10device_ptrIiEEEESC_SC_EENS0_5tupleIJSM_S6_EEENSO_IJSE_SE_EEES6_PlJS6_EEE10hipError_tPvRmT3_T4_T5_T6_T7_T9_mT8_P12ihipStream_tbDpT10_ENKUlT_T0_E_clISt17integral_constantIbLb0EES1B_EEDaS16_S17_EUlS16_E_NS1_11comp_targetILNS1_3genE8ELNS1_11target_archE1030ELNS1_3gpuE2ELNS1_3repE0EEENS1_30default_config_static_selectorELNS0_4arch9wavefront6targetE0EEEvT1_,comdat
.Lfunc_end9:
	.size	_ZN7rocprim17ROCPRIM_400000_NS6detail17trampoline_kernelINS0_14default_configENS1_25partition_config_selectorILNS1_17partition_subalgoE5EiNS0_10empty_typeEbEEZZNS1_14partition_implILS5_5ELb0ES3_mN6thrust23THRUST_200600_302600_NS17counting_iteratorIiNSA_11use_defaultESC_SC_EEPS6_NSA_18transform_iteratorINSA_8identityIiEENSA_6detail15normal_iteratorINSA_10device_ptrIiEEEESC_SC_EENS0_5tupleIJSM_S6_EEENSO_IJSE_SE_EEES6_PlJS6_EEE10hipError_tPvRmT3_T4_T5_T6_T7_T9_mT8_P12ihipStream_tbDpT10_ENKUlT_T0_E_clISt17integral_constantIbLb0EES1B_EEDaS16_S17_EUlS16_E_NS1_11comp_targetILNS1_3genE8ELNS1_11target_archE1030ELNS1_3gpuE2ELNS1_3repE0EEENS1_30default_config_static_selectorELNS0_4arch9wavefront6targetE0EEEvT1_, .Lfunc_end9-_ZN7rocprim17ROCPRIM_400000_NS6detail17trampoline_kernelINS0_14default_configENS1_25partition_config_selectorILNS1_17partition_subalgoE5EiNS0_10empty_typeEbEEZZNS1_14partition_implILS5_5ELb0ES3_mN6thrust23THRUST_200600_302600_NS17counting_iteratorIiNSA_11use_defaultESC_SC_EEPS6_NSA_18transform_iteratorINSA_8identityIiEENSA_6detail15normal_iteratorINSA_10device_ptrIiEEEESC_SC_EENS0_5tupleIJSM_S6_EEENSO_IJSE_SE_EEES6_PlJS6_EEE10hipError_tPvRmT3_T4_T5_T6_T7_T9_mT8_P12ihipStream_tbDpT10_ENKUlT_T0_E_clISt17integral_constantIbLb0EES1B_EEDaS16_S17_EUlS16_E_NS1_11comp_targetILNS1_3genE8ELNS1_11target_archE1030ELNS1_3gpuE2ELNS1_3repE0EEENS1_30default_config_static_selectorELNS0_4arch9wavefront6targetE0EEEvT1_
                                        ; -- End function
	.set _ZN7rocprim17ROCPRIM_400000_NS6detail17trampoline_kernelINS0_14default_configENS1_25partition_config_selectorILNS1_17partition_subalgoE5EiNS0_10empty_typeEbEEZZNS1_14partition_implILS5_5ELb0ES3_mN6thrust23THRUST_200600_302600_NS17counting_iteratorIiNSA_11use_defaultESC_SC_EEPS6_NSA_18transform_iteratorINSA_8identityIiEENSA_6detail15normal_iteratorINSA_10device_ptrIiEEEESC_SC_EENS0_5tupleIJSM_S6_EEENSO_IJSE_SE_EEES6_PlJS6_EEE10hipError_tPvRmT3_T4_T5_T6_T7_T9_mT8_P12ihipStream_tbDpT10_ENKUlT_T0_E_clISt17integral_constantIbLb0EES1B_EEDaS16_S17_EUlS16_E_NS1_11comp_targetILNS1_3genE8ELNS1_11target_archE1030ELNS1_3gpuE2ELNS1_3repE0EEENS1_30default_config_static_selectorELNS0_4arch9wavefront6targetE0EEEvT1_.num_vgpr, 0
	.set _ZN7rocprim17ROCPRIM_400000_NS6detail17trampoline_kernelINS0_14default_configENS1_25partition_config_selectorILNS1_17partition_subalgoE5EiNS0_10empty_typeEbEEZZNS1_14partition_implILS5_5ELb0ES3_mN6thrust23THRUST_200600_302600_NS17counting_iteratorIiNSA_11use_defaultESC_SC_EEPS6_NSA_18transform_iteratorINSA_8identityIiEENSA_6detail15normal_iteratorINSA_10device_ptrIiEEEESC_SC_EENS0_5tupleIJSM_S6_EEENSO_IJSE_SE_EEES6_PlJS6_EEE10hipError_tPvRmT3_T4_T5_T6_T7_T9_mT8_P12ihipStream_tbDpT10_ENKUlT_T0_E_clISt17integral_constantIbLb0EES1B_EEDaS16_S17_EUlS16_E_NS1_11comp_targetILNS1_3genE8ELNS1_11target_archE1030ELNS1_3gpuE2ELNS1_3repE0EEENS1_30default_config_static_selectorELNS0_4arch9wavefront6targetE0EEEvT1_.num_agpr, 0
	.set _ZN7rocprim17ROCPRIM_400000_NS6detail17trampoline_kernelINS0_14default_configENS1_25partition_config_selectorILNS1_17partition_subalgoE5EiNS0_10empty_typeEbEEZZNS1_14partition_implILS5_5ELb0ES3_mN6thrust23THRUST_200600_302600_NS17counting_iteratorIiNSA_11use_defaultESC_SC_EEPS6_NSA_18transform_iteratorINSA_8identityIiEENSA_6detail15normal_iteratorINSA_10device_ptrIiEEEESC_SC_EENS0_5tupleIJSM_S6_EEENSO_IJSE_SE_EEES6_PlJS6_EEE10hipError_tPvRmT3_T4_T5_T6_T7_T9_mT8_P12ihipStream_tbDpT10_ENKUlT_T0_E_clISt17integral_constantIbLb0EES1B_EEDaS16_S17_EUlS16_E_NS1_11comp_targetILNS1_3genE8ELNS1_11target_archE1030ELNS1_3gpuE2ELNS1_3repE0EEENS1_30default_config_static_selectorELNS0_4arch9wavefront6targetE0EEEvT1_.numbered_sgpr, 0
	.set _ZN7rocprim17ROCPRIM_400000_NS6detail17trampoline_kernelINS0_14default_configENS1_25partition_config_selectorILNS1_17partition_subalgoE5EiNS0_10empty_typeEbEEZZNS1_14partition_implILS5_5ELb0ES3_mN6thrust23THRUST_200600_302600_NS17counting_iteratorIiNSA_11use_defaultESC_SC_EEPS6_NSA_18transform_iteratorINSA_8identityIiEENSA_6detail15normal_iteratorINSA_10device_ptrIiEEEESC_SC_EENS0_5tupleIJSM_S6_EEENSO_IJSE_SE_EEES6_PlJS6_EEE10hipError_tPvRmT3_T4_T5_T6_T7_T9_mT8_P12ihipStream_tbDpT10_ENKUlT_T0_E_clISt17integral_constantIbLb0EES1B_EEDaS16_S17_EUlS16_E_NS1_11comp_targetILNS1_3genE8ELNS1_11target_archE1030ELNS1_3gpuE2ELNS1_3repE0EEENS1_30default_config_static_selectorELNS0_4arch9wavefront6targetE0EEEvT1_.num_named_barrier, 0
	.set _ZN7rocprim17ROCPRIM_400000_NS6detail17trampoline_kernelINS0_14default_configENS1_25partition_config_selectorILNS1_17partition_subalgoE5EiNS0_10empty_typeEbEEZZNS1_14partition_implILS5_5ELb0ES3_mN6thrust23THRUST_200600_302600_NS17counting_iteratorIiNSA_11use_defaultESC_SC_EEPS6_NSA_18transform_iteratorINSA_8identityIiEENSA_6detail15normal_iteratorINSA_10device_ptrIiEEEESC_SC_EENS0_5tupleIJSM_S6_EEENSO_IJSE_SE_EEES6_PlJS6_EEE10hipError_tPvRmT3_T4_T5_T6_T7_T9_mT8_P12ihipStream_tbDpT10_ENKUlT_T0_E_clISt17integral_constantIbLb0EES1B_EEDaS16_S17_EUlS16_E_NS1_11comp_targetILNS1_3genE8ELNS1_11target_archE1030ELNS1_3gpuE2ELNS1_3repE0EEENS1_30default_config_static_selectorELNS0_4arch9wavefront6targetE0EEEvT1_.private_seg_size, 0
	.set _ZN7rocprim17ROCPRIM_400000_NS6detail17trampoline_kernelINS0_14default_configENS1_25partition_config_selectorILNS1_17partition_subalgoE5EiNS0_10empty_typeEbEEZZNS1_14partition_implILS5_5ELb0ES3_mN6thrust23THRUST_200600_302600_NS17counting_iteratorIiNSA_11use_defaultESC_SC_EEPS6_NSA_18transform_iteratorINSA_8identityIiEENSA_6detail15normal_iteratorINSA_10device_ptrIiEEEESC_SC_EENS0_5tupleIJSM_S6_EEENSO_IJSE_SE_EEES6_PlJS6_EEE10hipError_tPvRmT3_T4_T5_T6_T7_T9_mT8_P12ihipStream_tbDpT10_ENKUlT_T0_E_clISt17integral_constantIbLb0EES1B_EEDaS16_S17_EUlS16_E_NS1_11comp_targetILNS1_3genE8ELNS1_11target_archE1030ELNS1_3gpuE2ELNS1_3repE0EEENS1_30default_config_static_selectorELNS0_4arch9wavefront6targetE0EEEvT1_.uses_vcc, 0
	.set _ZN7rocprim17ROCPRIM_400000_NS6detail17trampoline_kernelINS0_14default_configENS1_25partition_config_selectorILNS1_17partition_subalgoE5EiNS0_10empty_typeEbEEZZNS1_14partition_implILS5_5ELb0ES3_mN6thrust23THRUST_200600_302600_NS17counting_iteratorIiNSA_11use_defaultESC_SC_EEPS6_NSA_18transform_iteratorINSA_8identityIiEENSA_6detail15normal_iteratorINSA_10device_ptrIiEEEESC_SC_EENS0_5tupleIJSM_S6_EEENSO_IJSE_SE_EEES6_PlJS6_EEE10hipError_tPvRmT3_T4_T5_T6_T7_T9_mT8_P12ihipStream_tbDpT10_ENKUlT_T0_E_clISt17integral_constantIbLb0EES1B_EEDaS16_S17_EUlS16_E_NS1_11comp_targetILNS1_3genE8ELNS1_11target_archE1030ELNS1_3gpuE2ELNS1_3repE0EEENS1_30default_config_static_selectorELNS0_4arch9wavefront6targetE0EEEvT1_.uses_flat_scratch, 0
	.set _ZN7rocprim17ROCPRIM_400000_NS6detail17trampoline_kernelINS0_14default_configENS1_25partition_config_selectorILNS1_17partition_subalgoE5EiNS0_10empty_typeEbEEZZNS1_14partition_implILS5_5ELb0ES3_mN6thrust23THRUST_200600_302600_NS17counting_iteratorIiNSA_11use_defaultESC_SC_EEPS6_NSA_18transform_iteratorINSA_8identityIiEENSA_6detail15normal_iteratorINSA_10device_ptrIiEEEESC_SC_EENS0_5tupleIJSM_S6_EEENSO_IJSE_SE_EEES6_PlJS6_EEE10hipError_tPvRmT3_T4_T5_T6_T7_T9_mT8_P12ihipStream_tbDpT10_ENKUlT_T0_E_clISt17integral_constantIbLb0EES1B_EEDaS16_S17_EUlS16_E_NS1_11comp_targetILNS1_3genE8ELNS1_11target_archE1030ELNS1_3gpuE2ELNS1_3repE0EEENS1_30default_config_static_selectorELNS0_4arch9wavefront6targetE0EEEvT1_.has_dyn_sized_stack, 0
	.set _ZN7rocprim17ROCPRIM_400000_NS6detail17trampoline_kernelINS0_14default_configENS1_25partition_config_selectorILNS1_17partition_subalgoE5EiNS0_10empty_typeEbEEZZNS1_14partition_implILS5_5ELb0ES3_mN6thrust23THRUST_200600_302600_NS17counting_iteratorIiNSA_11use_defaultESC_SC_EEPS6_NSA_18transform_iteratorINSA_8identityIiEENSA_6detail15normal_iteratorINSA_10device_ptrIiEEEESC_SC_EENS0_5tupleIJSM_S6_EEENSO_IJSE_SE_EEES6_PlJS6_EEE10hipError_tPvRmT3_T4_T5_T6_T7_T9_mT8_P12ihipStream_tbDpT10_ENKUlT_T0_E_clISt17integral_constantIbLb0EES1B_EEDaS16_S17_EUlS16_E_NS1_11comp_targetILNS1_3genE8ELNS1_11target_archE1030ELNS1_3gpuE2ELNS1_3repE0EEENS1_30default_config_static_selectorELNS0_4arch9wavefront6targetE0EEEvT1_.has_recursion, 0
	.set _ZN7rocprim17ROCPRIM_400000_NS6detail17trampoline_kernelINS0_14default_configENS1_25partition_config_selectorILNS1_17partition_subalgoE5EiNS0_10empty_typeEbEEZZNS1_14partition_implILS5_5ELb0ES3_mN6thrust23THRUST_200600_302600_NS17counting_iteratorIiNSA_11use_defaultESC_SC_EEPS6_NSA_18transform_iteratorINSA_8identityIiEENSA_6detail15normal_iteratorINSA_10device_ptrIiEEEESC_SC_EENS0_5tupleIJSM_S6_EEENSO_IJSE_SE_EEES6_PlJS6_EEE10hipError_tPvRmT3_T4_T5_T6_T7_T9_mT8_P12ihipStream_tbDpT10_ENKUlT_T0_E_clISt17integral_constantIbLb0EES1B_EEDaS16_S17_EUlS16_E_NS1_11comp_targetILNS1_3genE8ELNS1_11target_archE1030ELNS1_3gpuE2ELNS1_3repE0EEENS1_30default_config_static_selectorELNS0_4arch9wavefront6targetE0EEEvT1_.has_indirect_call, 0
	.section	.AMDGPU.csdata,"",@progbits
; Kernel info:
; codeLenInByte = 0
; TotalNumSgprs: 0
; NumVgprs: 0
; ScratchSize: 0
; MemoryBound: 0
; FloatMode: 240
; IeeeMode: 1
; LDSByteSize: 0 bytes/workgroup (compile time only)
; SGPRBlocks: 0
; VGPRBlocks: 0
; NumSGPRsForWavesPerEU: 1
; NumVGPRsForWavesPerEU: 1
; Occupancy: 16
; WaveLimiterHint : 0
; COMPUTE_PGM_RSRC2:SCRATCH_EN: 0
; COMPUTE_PGM_RSRC2:USER_SGPR: 2
; COMPUTE_PGM_RSRC2:TRAP_HANDLER: 0
; COMPUTE_PGM_RSRC2:TGID_X_EN: 1
; COMPUTE_PGM_RSRC2:TGID_Y_EN: 0
; COMPUTE_PGM_RSRC2:TGID_Z_EN: 0
; COMPUTE_PGM_RSRC2:TIDIG_COMP_CNT: 0
	.section	.text._ZN7rocprim17ROCPRIM_400000_NS6detail17trampoline_kernelINS0_14default_configENS1_25transform_config_selectorImLb1EEEZNS1_14transform_implILb1ES3_S5_PmPlNS0_8identityIvEEEE10hipError_tT2_T3_mT4_P12ihipStream_tbEUlT_E_NS1_11comp_targetILNS1_3genE0ELNS1_11target_archE4294967295ELNS1_3gpuE0ELNS1_3repE0EEENS1_30default_config_static_selectorELNS0_4arch9wavefront6targetE0EEEvT1_,"axG",@progbits,_ZN7rocprim17ROCPRIM_400000_NS6detail17trampoline_kernelINS0_14default_configENS1_25transform_config_selectorImLb1EEEZNS1_14transform_implILb1ES3_S5_PmPlNS0_8identityIvEEEE10hipError_tT2_T3_mT4_P12ihipStream_tbEUlT_E_NS1_11comp_targetILNS1_3genE0ELNS1_11target_archE4294967295ELNS1_3gpuE0ELNS1_3repE0EEENS1_30default_config_static_selectorELNS0_4arch9wavefront6targetE0EEEvT1_,comdat
	.protected	_ZN7rocprim17ROCPRIM_400000_NS6detail17trampoline_kernelINS0_14default_configENS1_25transform_config_selectorImLb1EEEZNS1_14transform_implILb1ES3_S5_PmPlNS0_8identityIvEEEE10hipError_tT2_T3_mT4_P12ihipStream_tbEUlT_E_NS1_11comp_targetILNS1_3genE0ELNS1_11target_archE4294967295ELNS1_3gpuE0ELNS1_3repE0EEENS1_30default_config_static_selectorELNS0_4arch9wavefront6targetE0EEEvT1_ ; -- Begin function _ZN7rocprim17ROCPRIM_400000_NS6detail17trampoline_kernelINS0_14default_configENS1_25transform_config_selectorImLb1EEEZNS1_14transform_implILb1ES3_S5_PmPlNS0_8identityIvEEEE10hipError_tT2_T3_mT4_P12ihipStream_tbEUlT_E_NS1_11comp_targetILNS1_3genE0ELNS1_11target_archE4294967295ELNS1_3gpuE0ELNS1_3repE0EEENS1_30default_config_static_selectorELNS0_4arch9wavefront6targetE0EEEvT1_
	.globl	_ZN7rocprim17ROCPRIM_400000_NS6detail17trampoline_kernelINS0_14default_configENS1_25transform_config_selectorImLb1EEEZNS1_14transform_implILb1ES3_S5_PmPlNS0_8identityIvEEEE10hipError_tT2_T3_mT4_P12ihipStream_tbEUlT_E_NS1_11comp_targetILNS1_3genE0ELNS1_11target_archE4294967295ELNS1_3gpuE0ELNS1_3repE0EEENS1_30default_config_static_selectorELNS0_4arch9wavefront6targetE0EEEvT1_
	.p2align	8
	.type	_ZN7rocprim17ROCPRIM_400000_NS6detail17trampoline_kernelINS0_14default_configENS1_25transform_config_selectorImLb1EEEZNS1_14transform_implILb1ES3_S5_PmPlNS0_8identityIvEEEE10hipError_tT2_T3_mT4_P12ihipStream_tbEUlT_E_NS1_11comp_targetILNS1_3genE0ELNS1_11target_archE4294967295ELNS1_3gpuE0ELNS1_3repE0EEENS1_30default_config_static_selectorELNS0_4arch9wavefront6targetE0EEEvT1_,@function
_ZN7rocprim17ROCPRIM_400000_NS6detail17trampoline_kernelINS0_14default_configENS1_25transform_config_selectorImLb1EEEZNS1_14transform_implILb1ES3_S5_PmPlNS0_8identityIvEEEE10hipError_tT2_T3_mT4_P12ihipStream_tbEUlT_E_NS1_11comp_targetILNS1_3genE0ELNS1_11target_archE4294967295ELNS1_3gpuE0ELNS1_3repE0EEENS1_30default_config_static_selectorELNS0_4arch9wavefront6targetE0EEEvT1_: ; @_ZN7rocprim17ROCPRIM_400000_NS6detail17trampoline_kernelINS0_14default_configENS1_25transform_config_selectorImLb1EEEZNS1_14transform_implILb1ES3_S5_PmPlNS0_8identityIvEEEE10hipError_tT2_T3_mT4_P12ihipStream_tbEUlT_E_NS1_11comp_targetILNS1_3genE0ELNS1_11target_archE4294967295ELNS1_3gpuE0ELNS1_3repE0EEENS1_30default_config_static_selectorELNS0_4arch9wavefront6targetE0EEEvT1_
; %bb.0:
	.section	.rodata,"a",@progbits
	.p2align	6, 0x0
	.amdhsa_kernel _ZN7rocprim17ROCPRIM_400000_NS6detail17trampoline_kernelINS0_14default_configENS1_25transform_config_selectorImLb1EEEZNS1_14transform_implILb1ES3_S5_PmPlNS0_8identityIvEEEE10hipError_tT2_T3_mT4_P12ihipStream_tbEUlT_E_NS1_11comp_targetILNS1_3genE0ELNS1_11target_archE4294967295ELNS1_3gpuE0ELNS1_3repE0EEENS1_30default_config_static_selectorELNS0_4arch9wavefront6targetE0EEEvT1_
		.amdhsa_group_segment_fixed_size 0
		.amdhsa_private_segment_fixed_size 0
		.amdhsa_kernarg_size 40
		.amdhsa_user_sgpr_count 2
		.amdhsa_user_sgpr_dispatch_ptr 0
		.amdhsa_user_sgpr_queue_ptr 0
		.amdhsa_user_sgpr_kernarg_segment_ptr 1
		.amdhsa_user_sgpr_dispatch_id 0
		.amdhsa_user_sgpr_private_segment_size 0
		.amdhsa_wavefront_size32 1
		.amdhsa_uses_dynamic_stack 0
		.amdhsa_enable_private_segment 0
		.amdhsa_system_sgpr_workgroup_id_x 1
		.amdhsa_system_sgpr_workgroup_id_y 0
		.amdhsa_system_sgpr_workgroup_id_z 0
		.amdhsa_system_sgpr_workgroup_info 0
		.amdhsa_system_vgpr_workitem_id 0
		.amdhsa_next_free_vgpr 1
		.amdhsa_next_free_sgpr 1
		.amdhsa_reserve_vcc 0
		.amdhsa_float_round_mode_32 0
		.amdhsa_float_round_mode_16_64 0
		.amdhsa_float_denorm_mode_32 3
		.amdhsa_float_denorm_mode_16_64 3
		.amdhsa_fp16_overflow 0
		.amdhsa_workgroup_processor_mode 1
		.amdhsa_memory_ordered 1
		.amdhsa_forward_progress 1
		.amdhsa_inst_pref_size 0
		.amdhsa_round_robin_scheduling 0
		.amdhsa_exception_fp_ieee_invalid_op 0
		.amdhsa_exception_fp_denorm_src 0
		.amdhsa_exception_fp_ieee_div_zero 0
		.amdhsa_exception_fp_ieee_overflow 0
		.amdhsa_exception_fp_ieee_underflow 0
		.amdhsa_exception_fp_ieee_inexact 0
		.amdhsa_exception_int_div_zero 0
	.end_amdhsa_kernel
	.section	.text._ZN7rocprim17ROCPRIM_400000_NS6detail17trampoline_kernelINS0_14default_configENS1_25transform_config_selectorImLb1EEEZNS1_14transform_implILb1ES3_S5_PmPlNS0_8identityIvEEEE10hipError_tT2_T3_mT4_P12ihipStream_tbEUlT_E_NS1_11comp_targetILNS1_3genE0ELNS1_11target_archE4294967295ELNS1_3gpuE0ELNS1_3repE0EEENS1_30default_config_static_selectorELNS0_4arch9wavefront6targetE0EEEvT1_,"axG",@progbits,_ZN7rocprim17ROCPRIM_400000_NS6detail17trampoline_kernelINS0_14default_configENS1_25transform_config_selectorImLb1EEEZNS1_14transform_implILb1ES3_S5_PmPlNS0_8identityIvEEEE10hipError_tT2_T3_mT4_P12ihipStream_tbEUlT_E_NS1_11comp_targetILNS1_3genE0ELNS1_11target_archE4294967295ELNS1_3gpuE0ELNS1_3repE0EEENS1_30default_config_static_selectorELNS0_4arch9wavefront6targetE0EEEvT1_,comdat
.Lfunc_end10:
	.size	_ZN7rocprim17ROCPRIM_400000_NS6detail17trampoline_kernelINS0_14default_configENS1_25transform_config_selectorImLb1EEEZNS1_14transform_implILb1ES3_S5_PmPlNS0_8identityIvEEEE10hipError_tT2_T3_mT4_P12ihipStream_tbEUlT_E_NS1_11comp_targetILNS1_3genE0ELNS1_11target_archE4294967295ELNS1_3gpuE0ELNS1_3repE0EEENS1_30default_config_static_selectorELNS0_4arch9wavefront6targetE0EEEvT1_, .Lfunc_end10-_ZN7rocprim17ROCPRIM_400000_NS6detail17trampoline_kernelINS0_14default_configENS1_25transform_config_selectorImLb1EEEZNS1_14transform_implILb1ES3_S5_PmPlNS0_8identityIvEEEE10hipError_tT2_T3_mT4_P12ihipStream_tbEUlT_E_NS1_11comp_targetILNS1_3genE0ELNS1_11target_archE4294967295ELNS1_3gpuE0ELNS1_3repE0EEENS1_30default_config_static_selectorELNS0_4arch9wavefront6targetE0EEEvT1_
                                        ; -- End function
	.set _ZN7rocprim17ROCPRIM_400000_NS6detail17trampoline_kernelINS0_14default_configENS1_25transform_config_selectorImLb1EEEZNS1_14transform_implILb1ES3_S5_PmPlNS0_8identityIvEEEE10hipError_tT2_T3_mT4_P12ihipStream_tbEUlT_E_NS1_11comp_targetILNS1_3genE0ELNS1_11target_archE4294967295ELNS1_3gpuE0ELNS1_3repE0EEENS1_30default_config_static_selectorELNS0_4arch9wavefront6targetE0EEEvT1_.num_vgpr, 0
	.set _ZN7rocprim17ROCPRIM_400000_NS6detail17trampoline_kernelINS0_14default_configENS1_25transform_config_selectorImLb1EEEZNS1_14transform_implILb1ES3_S5_PmPlNS0_8identityIvEEEE10hipError_tT2_T3_mT4_P12ihipStream_tbEUlT_E_NS1_11comp_targetILNS1_3genE0ELNS1_11target_archE4294967295ELNS1_3gpuE0ELNS1_3repE0EEENS1_30default_config_static_selectorELNS0_4arch9wavefront6targetE0EEEvT1_.num_agpr, 0
	.set _ZN7rocprim17ROCPRIM_400000_NS6detail17trampoline_kernelINS0_14default_configENS1_25transform_config_selectorImLb1EEEZNS1_14transform_implILb1ES3_S5_PmPlNS0_8identityIvEEEE10hipError_tT2_T3_mT4_P12ihipStream_tbEUlT_E_NS1_11comp_targetILNS1_3genE0ELNS1_11target_archE4294967295ELNS1_3gpuE0ELNS1_3repE0EEENS1_30default_config_static_selectorELNS0_4arch9wavefront6targetE0EEEvT1_.numbered_sgpr, 0
	.set _ZN7rocprim17ROCPRIM_400000_NS6detail17trampoline_kernelINS0_14default_configENS1_25transform_config_selectorImLb1EEEZNS1_14transform_implILb1ES3_S5_PmPlNS0_8identityIvEEEE10hipError_tT2_T3_mT4_P12ihipStream_tbEUlT_E_NS1_11comp_targetILNS1_3genE0ELNS1_11target_archE4294967295ELNS1_3gpuE0ELNS1_3repE0EEENS1_30default_config_static_selectorELNS0_4arch9wavefront6targetE0EEEvT1_.num_named_barrier, 0
	.set _ZN7rocprim17ROCPRIM_400000_NS6detail17trampoline_kernelINS0_14default_configENS1_25transform_config_selectorImLb1EEEZNS1_14transform_implILb1ES3_S5_PmPlNS0_8identityIvEEEE10hipError_tT2_T3_mT4_P12ihipStream_tbEUlT_E_NS1_11comp_targetILNS1_3genE0ELNS1_11target_archE4294967295ELNS1_3gpuE0ELNS1_3repE0EEENS1_30default_config_static_selectorELNS0_4arch9wavefront6targetE0EEEvT1_.private_seg_size, 0
	.set _ZN7rocprim17ROCPRIM_400000_NS6detail17trampoline_kernelINS0_14default_configENS1_25transform_config_selectorImLb1EEEZNS1_14transform_implILb1ES3_S5_PmPlNS0_8identityIvEEEE10hipError_tT2_T3_mT4_P12ihipStream_tbEUlT_E_NS1_11comp_targetILNS1_3genE0ELNS1_11target_archE4294967295ELNS1_3gpuE0ELNS1_3repE0EEENS1_30default_config_static_selectorELNS0_4arch9wavefront6targetE0EEEvT1_.uses_vcc, 0
	.set _ZN7rocprim17ROCPRIM_400000_NS6detail17trampoline_kernelINS0_14default_configENS1_25transform_config_selectorImLb1EEEZNS1_14transform_implILb1ES3_S5_PmPlNS0_8identityIvEEEE10hipError_tT2_T3_mT4_P12ihipStream_tbEUlT_E_NS1_11comp_targetILNS1_3genE0ELNS1_11target_archE4294967295ELNS1_3gpuE0ELNS1_3repE0EEENS1_30default_config_static_selectorELNS0_4arch9wavefront6targetE0EEEvT1_.uses_flat_scratch, 0
	.set _ZN7rocprim17ROCPRIM_400000_NS6detail17trampoline_kernelINS0_14default_configENS1_25transform_config_selectorImLb1EEEZNS1_14transform_implILb1ES3_S5_PmPlNS0_8identityIvEEEE10hipError_tT2_T3_mT4_P12ihipStream_tbEUlT_E_NS1_11comp_targetILNS1_3genE0ELNS1_11target_archE4294967295ELNS1_3gpuE0ELNS1_3repE0EEENS1_30default_config_static_selectorELNS0_4arch9wavefront6targetE0EEEvT1_.has_dyn_sized_stack, 0
	.set _ZN7rocprim17ROCPRIM_400000_NS6detail17trampoline_kernelINS0_14default_configENS1_25transform_config_selectorImLb1EEEZNS1_14transform_implILb1ES3_S5_PmPlNS0_8identityIvEEEE10hipError_tT2_T3_mT4_P12ihipStream_tbEUlT_E_NS1_11comp_targetILNS1_3genE0ELNS1_11target_archE4294967295ELNS1_3gpuE0ELNS1_3repE0EEENS1_30default_config_static_selectorELNS0_4arch9wavefront6targetE0EEEvT1_.has_recursion, 0
	.set _ZN7rocprim17ROCPRIM_400000_NS6detail17trampoline_kernelINS0_14default_configENS1_25transform_config_selectorImLb1EEEZNS1_14transform_implILb1ES3_S5_PmPlNS0_8identityIvEEEE10hipError_tT2_T3_mT4_P12ihipStream_tbEUlT_E_NS1_11comp_targetILNS1_3genE0ELNS1_11target_archE4294967295ELNS1_3gpuE0ELNS1_3repE0EEENS1_30default_config_static_selectorELNS0_4arch9wavefront6targetE0EEEvT1_.has_indirect_call, 0
	.section	.AMDGPU.csdata,"",@progbits
; Kernel info:
; codeLenInByte = 0
; TotalNumSgprs: 0
; NumVgprs: 0
; ScratchSize: 0
; MemoryBound: 0
; FloatMode: 240
; IeeeMode: 1
; LDSByteSize: 0 bytes/workgroup (compile time only)
; SGPRBlocks: 0
; VGPRBlocks: 0
; NumSGPRsForWavesPerEU: 1
; NumVGPRsForWavesPerEU: 1
; Occupancy: 16
; WaveLimiterHint : 0
; COMPUTE_PGM_RSRC2:SCRATCH_EN: 0
; COMPUTE_PGM_RSRC2:USER_SGPR: 2
; COMPUTE_PGM_RSRC2:TRAP_HANDLER: 0
; COMPUTE_PGM_RSRC2:TGID_X_EN: 1
; COMPUTE_PGM_RSRC2:TGID_Y_EN: 0
; COMPUTE_PGM_RSRC2:TGID_Z_EN: 0
; COMPUTE_PGM_RSRC2:TIDIG_COMP_CNT: 0
	.section	.text._ZN7rocprim17ROCPRIM_400000_NS6detail17trampoline_kernelINS0_14default_configENS1_25transform_config_selectorImLb1EEEZNS1_14transform_implILb1ES3_S5_PmPlNS0_8identityIvEEEE10hipError_tT2_T3_mT4_P12ihipStream_tbEUlT_E_NS1_11comp_targetILNS1_3genE10ELNS1_11target_archE1201ELNS1_3gpuE5ELNS1_3repE0EEENS1_30default_config_static_selectorELNS0_4arch9wavefront6targetE0EEEvT1_,"axG",@progbits,_ZN7rocprim17ROCPRIM_400000_NS6detail17trampoline_kernelINS0_14default_configENS1_25transform_config_selectorImLb1EEEZNS1_14transform_implILb1ES3_S5_PmPlNS0_8identityIvEEEE10hipError_tT2_T3_mT4_P12ihipStream_tbEUlT_E_NS1_11comp_targetILNS1_3genE10ELNS1_11target_archE1201ELNS1_3gpuE5ELNS1_3repE0EEENS1_30default_config_static_selectorELNS0_4arch9wavefront6targetE0EEEvT1_,comdat
	.protected	_ZN7rocprim17ROCPRIM_400000_NS6detail17trampoline_kernelINS0_14default_configENS1_25transform_config_selectorImLb1EEEZNS1_14transform_implILb1ES3_S5_PmPlNS0_8identityIvEEEE10hipError_tT2_T3_mT4_P12ihipStream_tbEUlT_E_NS1_11comp_targetILNS1_3genE10ELNS1_11target_archE1201ELNS1_3gpuE5ELNS1_3repE0EEENS1_30default_config_static_selectorELNS0_4arch9wavefront6targetE0EEEvT1_ ; -- Begin function _ZN7rocprim17ROCPRIM_400000_NS6detail17trampoline_kernelINS0_14default_configENS1_25transform_config_selectorImLb1EEEZNS1_14transform_implILb1ES3_S5_PmPlNS0_8identityIvEEEE10hipError_tT2_T3_mT4_P12ihipStream_tbEUlT_E_NS1_11comp_targetILNS1_3genE10ELNS1_11target_archE1201ELNS1_3gpuE5ELNS1_3repE0EEENS1_30default_config_static_selectorELNS0_4arch9wavefront6targetE0EEEvT1_
	.globl	_ZN7rocprim17ROCPRIM_400000_NS6detail17trampoline_kernelINS0_14default_configENS1_25transform_config_selectorImLb1EEEZNS1_14transform_implILb1ES3_S5_PmPlNS0_8identityIvEEEE10hipError_tT2_T3_mT4_P12ihipStream_tbEUlT_E_NS1_11comp_targetILNS1_3genE10ELNS1_11target_archE1201ELNS1_3gpuE5ELNS1_3repE0EEENS1_30default_config_static_selectorELNS0_4arch9wavefront6targetE0EEEvT1_
	.p2align	8
	.type	_ZN7rocprim17ROCPRIM_400000_NS6detail17trampoline_kernelINS0_14default_configENS1_25transform_config_selectorImLb1EEEZNS1_14transform_implILb1ES3_S5_PmPlNS0_8identityIvEEEE10hipError_tT2_T3_mT4_P12ihipStream_tbEUlT_E_NS1_11comp_targetILNS1_3genE10ELNS1_11target_archE1201ELNS1_3gpuE5ELNS1_3repE0EEENS1_30default_config_static_selectorELNS0_4arch9wavefront6targetE0EEEvT1_,@function
_ZN7rocprim17ROCPRIM_400000_NS6detail17trampoline_kernelINS0_14default_configENS1_25transform_config_selectorImLb1EEEZNS1_14transform_implILb1ES3_S5_PmPlNS0_8identityIvEEEE10hipError_tT2_T3_mT4_P12ihipStream_tbEUlT_E_NS1_11comp_targetILNS1_3genE10ELNS1_11target_archE1201ELNS1_3gpuE5ELNS1_3repE0EEENS1_30default_config_static_selectorELNS0_4arch9wavefront6targetE0EEEvT1_: ; @_ZN7rocprim17ROCPRIM_400000_NS6detail17trampoline_kernelINS0_14default_configENS1_25transform_config_selectorImLb1EEEZNS1_14transform_implILb1ES3_S5_PmPlNS0_8identityIvEEEE10hipError_tT2_T3_mT4_P12ihipStream_tbEUlT_E_NS1_11comp_targetILNS1_3genE10ELNS1_11target_archE1201ELNS1_3gpuE5ELNS1_3repE0EEENS1_30default_config_static_selectorELNS0_4arch9wavefront6targetE0EEEvT1_
; %bb.0:
	s_clause 0x1
	s_load_b256 s[4:11], s[0:1], 0x0
	s_load_b32 s12, s[0:1], 0x28
	s_lshl_b32 s0, ttmp9, 11
	s_mov_b32 s1, 0
	s_wait_kmcnt 0x0
	s_mov_b32 s9, -1
	s_lshl_b64 s[2:3], s[6:7], 3
	s_add_co_i32 s12, s12, -1
	s_add_nc_u64 s[6:7], s[4:5], s[2:3]
	s_lshl_b64 s[4:5], s[0:1], 3
	s_add_nc_u64 s[2:3], s[10:11], s[2:3]
	s_cmp_lg_u32 ttmp9, s12
	s_add_nc_u64 s[6:7], s[6:7], s[4:5]
	s_cbranch_scc0 .LBB11_2
; %bb.1:
	v_lshlrev_b32_e32 v5, 4, v0
	s_add_nc_u64 s[10:11], s[2:3], s[4:5]
	s_mov_b32 s9, 0
	global_load_b128 v[1:4], v5, s[6:7] th:TH_LOAD_NT
	s_wait_loadcnt 0x0
	global_store_b128 v5, v[1:4], s[10:11]
.LBB11_2:
	s_and_not1_b32 vcc_lo, exec_lo, s9
	s_cbranch_vccnz .LBB11_11
; %bb.3:
	v_mov_b32_e32 v1, 0
	s_sub_co_i32 s1, s8, s0
	s_delay_alu instid0(SALU_CYCLE_1) | instskip(NEXT) | instid1(VALU_DEP_2)
	v_cmp_gt_u32_e32 vcc_lo, s1, v0
	v_dual_mov_b32 v2, v1 :: v_dual_mov_b32 v3, v1
	v_mov_b32_e32 v4, v1
	s_and_saveexec_b32 s0, vcc_lo
	s_cbranch_execz .LBB11_5
; %bb.4:
	v_dual_mov_b32 v5, v1 :: v_dual_lshlrev_b32 v2, 3, v0
	v_mov_b32_e32 v4, v1
	global_load_b64 v[2:3], v2, s[6:7]
	s_wait_loadcnt 0x0
	v_mov_b32_e32 v1, v2
	v_mov_b32_e32 v2, v3
	v_mov_b32_e32 v3, v4
	v_mov_b32_e32 v4, v5
.LBB11_5:
	s_wait_alu 0xfffe
	s_or_b32 exec_lo, exec_lo, s0
	v_or_b32_e32 v5, 0x400, v0
	s_delay_alu instid0(VALU_DEP_1) | instskip(SKIP_2) | instid1(SALU_CYCLE_1)
	v_cmp_gt_u32_e64 s0, s1, v5
	v_cmp_le_u32_e64 s1, s1, v5
	s_and_saveexec_b32 s8, s1
	s_xor_b32 s1, exec_lo, s8
	s_wait_alu 0xfffe
	s_and_not1_saveexec_b32 s1, s1
	s_cbranch_execz .LBB11_7
; %bb.6:
	v_lshlrev_b32_e32 v3, 3, v0
	global_load_b64 v[3:4], v3, s[6:7] offset:8192
.LBB11_7:
	s_wait_alu 0xfffe
	s_or_b32 exec_lo, exec_lo, s1
	v_dual_cndmask_b32 v5, 0, v1 :: v_dual_lshlrev_b32 v0, 3, v0
	s_add_nc_u64 s[2:3], s[2:3], s[4:5]
	v_cndmask_b32_e32 v6, 0, v2, vcc_lo
	s_delay_alu instid0(VALU_DEP_2)
	v_add_co_u32 v0, s1, s2, v0
	s_wait_alu 0xf1ff
	v_add_co_ci_u32_e64 v1, null, s3, 0, s1
	s_and_saveexec_b32 s1, vcc_lo
	s_cbranch_execz .LBB11_9
; %bb.8:
	global_store_b64 v[0:1], v[5:6], off
.LBB11_9:
	s_wait_alu 0xfffe
	s_or_b32 exec_lo, exec_lo, s1
	s_and_saveexec_b32 s1, s0
	s_cbranch_execz .LBB11_11
; %bb.10:
	s_wait_loadcnt 0x0
	v_cndmask_b32_e64 v4, 0, v4, s0
	v_cndmask_b32_e64 v3, 0, v3, s0
	global_store_b64 v[0:1], v[3:4], off offset:8192
.LBB11_11:
	s_endpgm
	.section	.rodata,"a",@progbits
	.p2align	6, 0x0
	.amdhsa_kernel _ZN7rocprim17ROCPRIM_400000_NS6detail17trampoline_kernelINS0_14default_configENS1_25transform_config_selectorImLb1EEEZNS1_14transform_implILb1ES3_S5_PmPlNS0_8identityIvEEEE10hipError_tT2_T3_mT4_P12ihipStream_tbEUlT_E_NS1_11comp_targetILNS1_3genE10ELNS1_11target_archE1201ELNS1_3gpuE5ELNS1_3repE0EEENS1_30default_config_static_selectorELNS0_4arch9wavefront6targetE0EEEvT1_
		.amdhsa_group_segment_fixed_size 0
		.amdhsa_private_segment_fixed_size 0
		.amdhsa_kernarg_size 296
		.amdhsa_user_sgpr_count 2
		.amdhsa_user_sgpr_dispatch_ptr 0
		.amdhsa_user_sgpr_queue_ptr 0
		.amdhsa_user_sgpr_kernarg_segment_ptr 1
		.amdhsa_user_sgpr_dispatch_id 0
		.amdhsa_user_sgpr_private_segment_size 0
		.amdhsa_wavefront_size32 1
		.amdhsa_uses_dynamic_stack 0
		.amdhsa_enable_private_segment 0
		.amdhsa_system_sgpr_workgroup_id_x 1
		.amdhsa_system_sgpr_workgroup_id_y 0
		.amdhsa_system_sgpr_workgroup_id_z 0
		.amdhsa_system_sgpr_workgroup_info 0
		.amdhsa_system_vgpr_workitem_id 0
		.amdhsa_next_free_vgpr 7
		.amdhsa_next_free_sgpr 13
		.amdhsa_reserve_vcc 1
		.amdhsa_float_round_mode_32 0
		.amdhsa_float_round_mode_16_64 0
		.amdhsa_float_denorm_mode_32 3
		.amdhsa_float_denorm_mode_16_64 3
		.amdhsa_fp16_overflow 0
		.amdhsa_workgroup_processor_mode 1
		.amdhsa_memory_ordered 1
		.amdhsa_forward_progress 1
		.amdhsa_inst_pref_size 4
		.amdhsa_round_robin_scheduling 0
		.amdhsa_exception_fp_ieee_invalid_op 0
		.amdhsa_exception_fp_denorm_src 0
		.amdhsa_exception_fp_ieee_div_zero 0
		.amdhsa_exception_fp_ieee_overflow 0
		.amdhsa_exception_fp_ieee_underflow 0
		.amdhsa_exception_fp_ieee_inexact 0
		.amdhsa_exception_int_div_zero 0
	.end_amdhsa_kernel
	.section	.text._ZN7rocprim17ROCPRIM_400000_NS6detail17trampoline_kernelINS0_14default_configENS1_25transform_config_selectorImLb1EEEZNS1_14transform_implILb1ES3_S5_PmPlNS0_8identityIvEEEE10hipError_tT2_T3_mT4_P12ihipStream_tbEUlT_E_NS1_11comp_targetILNS1_3genE10ELNS1_11target_archE1201ELNS1_3gpuE5ELNS1_3repE0EEENS1_30default_config_static_selectorELNS0_4arch9wavefront6targetE0EEEvT1_,"axG",@progbits,_ZN7rocprim17ROCPRIM_400000_NS6detail17trampoline_kernelINS0_14default_configENS1_25transform_config_selectorImLb1EEEZNS1_14transform_implILb1ES3_S5_PmPlNS0_8identityIvEEEE10hipError_tT2_T3_mT4_P12ihipStream_tbEUlT_E_NS1_11comp_targetILNS1_3genE10ELNS1_11target_archE1201ELNS1_3gpuE5ELNS1_3repE0EEENS1_30default_config_static_selectorELNS0_4arch9wavefront6targetE0EEEvT1_,comdat
.Lfunc_end11:
	.size	_ZN7rocprim17ROCPRIM_400000_NS6detail17trampoline_kernelINS0_14default_configENS1_25transform_config_selectorImLb1EEEZNS1_14transform_implILb1ES3_S5_PmPlNS0_8identityIvEEEE10hipError_tT2_T3_mT4_P12ihipStream_tbEUlT_E_NS1_11comp_targetILNS1_3genE10ELNS1_11target_archE1201ELNS1_3gpuE5ELNS1_3repE0EEENS1_30default_config_static_selectorELNS0_4arch9wavefront6targetE0EEEvT1_, .Lfunc_end11-_ZN7rocprim17ROCPRIM_400000_NS6detail17trampoline_kernelINS0_14default_configENS1_25transform_config_selectorImLb1EEEZNS1_14transform_implILb1ES3_S5_PmPlNS0_8identityIvEEEE10hipError_tT2_T3_mT4_P12ihipStream_tbEUlT_E_NS1_11comp_targetILNS1_3genE10ELNS1_11target_archE1201ELNS1_3gpuE5ELNS1_3repE0EEENS1_30default_config_static_selectorELNS0_4arch9wavefront6targetE0EEEvT1_
                                        ; -- End function
	.set _ZN7rocprim17ROCPRIM_400000_NS6detail17trampoline_kernelINS0_14default_configENS1_25transform_config_selectorImLb1EEEZNS1_14transform_implILb1ES3_S5_PmPlNS0_8identityIvEEEE10hipError_tT2_T3_mT4_P12ihipStream_tbEUlT_E_NS1_11comp_targetILNS1_3genE10ELNS1_11target_archE1201ELNS1_3gpuE5ELNS1_3repE0EEENS1_30default_config_static_selectorELNS0_4arch9wavefront6targetE0EEEvT1_.num_vgpr, 7
	.set _ZN7rocprim17ROCPRIM_400000_NS6detail17trampoline_kernelINS0_14default_configENS1_25transform_config_selectorImLb1EEEZNS1_14transform_implILb1ES3_S5_PmPlNS0_8identityIvEEEE10hipError_tT2_T3_mT4_P12ihipStream_tbEUlT_E_NS1_11comp_targetILNS1_3genE10ELNS1_11target_archE1201ELNS1_3gpuE5ELNS1_3repE0EEENS1_30default_config_static_selectorELNS0_4arch9wavefront6targetE0EEEvT1_.num_agpr, 0
	.set _ZN7rocprim17ROCPRIM_400000_NS6detail17trampoline_kernelINS0_14default_configENS1_25transform_config_selectorImLb1EEEZNS1_14transform_implILb1ES3_S5_PmPlNS0_8identityIvEEEE10hipError_tT2_T3_mT4_P12ihipStream_tbEUlT_E_NS1_11comp_targetILNS1_3genE10ELNS1_11target_archE1201ELNS1_3gpuE5ELNS1_3repE0EEENS1_30default_config_static_selectorELNS0_4arch9wavefront6targetE0EEEvT1_.numbered_sgpr, 13
	.set _ZN7rocprim17ROCPRIM_400000_NS6detail17trampoline_kernelINS0_14default_configENS1_25transform_config_selectorImLb1EEEZNS1_14transform_implILb1ES3_S5_PmPlNS0_8identityIvEEEE10hipError_tT2_T3_mT4_P12ihipStream_tbEUlT_E_NS1_11comp_targetILNS1_3genE10ELNS1_11target_archE1201ELNS1_3gpuE5ELNS1_3repE0EEENS1_30default_config_static_selectorELNS0_4arch9wavefront6targetE0EEEvT1_.num_named_barrier, 0
	.set _ZN7rocprim17ROCPRIM_400000_NS6detail17trampoline_kernelINS0_14default_configENS1_25transform_config_selectorImLb1EEEZNS1_14transform_implILb1ES3_S5_PmPlNS0_8identityIvEEEE10hipError_tT2_T3_mT4_P12ihipStream_tbEUlT_E_NS1_11comp_targetILNS1_3genE10ELNS1_11target_archE1201ELNS1_3gpuE5ELNS1_3repE0EEENS1_30default_config_static_selectorELNS0_4arch9wavefront6targetE0EEEvT1_.private_seg_size, 0
	.set _ZN7rocprim17ROCPRIM_400000_NS6detail17trampoline_kernelINS0_14default_configENS1_25transform_config_selectorImLb1EEEZNS1_14transform_implILb1ES3_S5_PmPlNS0_8identityIvEEEE10hipError_tT2_T3_mT4_P12ihipStream_tbEUlT_E_NS1_11comp_targetILNS1_3genE10ELNS1_11target_archE1201ELNS1_3gpuE5ELNS1_3repE0EEENS1_30default_config_static_selectorELNS0_4arch9wavefront6targetE0EEEvT1_.uses_vcc, 1
	.set _ZN7rocprim17ROCPRIM_400000_NS6detail17trampoline_kernelINS0_14default_configENS1_25transform_config_selectorImLb1EEEZNS1_14transform_implILb1ES3_S5_PmPlNS0_8identityIvEEEE10hipError_tT2_T3_mT4_P12ihipStream_tbEUlT_E_NS1_11comp_targetILNS1_3genE10ELNS1_11target_archE1201ELNS1_3gpuE5ELNS1_3repE0EEENS1_30default_config_static_selectorELNS0_4arch9wavefront6targetE0EEEvT1_.uses_flat_scratch, 0
	.set _ZN7rocprim17ROCPRIM_400000_NS6detail17trampoline_kernelINS0_14default_configENS1_25transform_config_selectorImLb1EEEZNS1_14transform_implILb1ES3_S5_PmPlNS0_8identityIvEEEE10hipError_tT2_T3_mT4_P12ihipStream_tbEUlT_E_NS1_11comp_targetILNS1_3genE10ELNS1_11target_archE1201ELNS1_3gpuE5ELNS1_3repE0EEENS1_30default_config_static_selectorELNS0_4arch9wavefront6targetE0EEEvT1_.has_dyn_sized_stack, 0
	.set _ZN7rocprim17ROCPRIM_400000_NS6detail17trampoline_kernelINS0_14default_configENS1_25transform_config_selectorImLb1EEEZNS1_14transform_implILb1ES3_S5_PmPlNS0_8identityIvEEEE10hipError_tT2_T3_mT4_P12ihipStream_tbEUlT_E_NS1_11comp_targetILNS1_3genE10ELNS1_11target_archE1201ELNS1_3gpuE5ELNS1_3repE0EEENS1_30default_config_static_selectorELNS0_4arch9wavefront6targetE0EEEvT1_.has_recursion, 0
	.set _ZN7rocprim17ROCPRIM_400000_NS6detail17trampoline_kernelINS0_14default_configENS1_25transform_config_selectorImLb1EEEZNS1_14transform_implILb1ES3_S5_PmPlNS0_8identityIvEEEE10hipError_tT2_T3_mT4_P12ihipStream_tbEUlT_E_NS1_11comp_targetILNS1_3genE10ELNS1_11target_archE1201ELNS1_3gpuE5ELNS1_3repE0EEENS1_30default_config_static_selectorELNS0_4arch9wavefront6targetE0EEEvT1_.has_indirect_call, 0
	.section	.AMDGPU.csdata,"",@progbits
; Kernel info:
; codeLenInByte = 388
; TotalNumSgprs: 15
; NumVgprs: 7
; ScratchSize: 0
; MemoryBound: 1
; FloatMode: 240
; IeeeMode: 1
; LDSByteSize: 0 bytes/workgroup (compile time only)
; SGPRBlocks: 0
; VGPRBlocks: 0
; NumSGPRsForWavesPerEU: 15
; NumVGPRsForWavesPerEU: 7
; Occupancy: 16
; WaveLimiterHint : 0
; COMPUTE_PGM_RSRC2:SCRATCH_EN: 0
; COMPUTE_PGM_RSRC2:USER_SGPR: 2
; COMPUTE_PGM_RSRC2:TRAP_HANDLER: 0
; COMPUTE_PGM_RSRC2:TGID_X_EN: 1
; COMPUTE_PGM_RSRC2:TGID_Y_EN: 0
; COMPUTE_PGM_RSRC2:TGID_Z_EN: 0
; COMPUTE_PGM_RSRC2:TIDIG_COMP_CNT: 0
	.section	.text._ZN7rocprim17ROCPRIM_400000_NS6detail17trampoline_kernelINS0_14default_configENS1_25transform_config_selectorImLb1EEEZNS1_14transform_implILb1ES3_S5_PmPlNS0_8identityIvEEEE10hipError_tT2_T3_mT4_P12ihipStream_tbEUlT_E_NS1_11comp_targetILNS1_3genE5ELNS1_11target_archE942ELNS1_3gpuE9ELNS1_3repE0EEENS1_30default_config_static_selectorELNS0_4arch9wavefront6targetE0EEEvT1_,"axG",@progbits,_ZN7rocprim17ROCPRIM_400000_NS6detail17trampoline_kernelINS0_14default_configENS1_25transform_config_selectorImLb1EEEZNS1_14transform_implILb1ES3_S5_PmPlNS0_8identityIvEEEE10hipError_tT2_T3_mT4_P12ihipStream_tbEUlT_E_NS1_11comp_targetILNS1_3genE5ELNS1_11target_archE942ELNS1_3gpuE9ELNS1_3repE0EEENS1_30default_config_static_selectorELNS0_4arch9wavefront6targetE0EEEvT1_,comdat
	.protected	_ZN7rocprim17ROCPRIM_400000_NS6detail17trampoline_kernelINS0_14default_configENS1_25transform_config_selectorImLb1EEEZNS1_14transform_implILb1ES3_S5_PmPlNS0_8identityIvEEEE10hipError_tT2_T3_mT4_P12ihipStream_tbEUlT_E_NS1_11comp_targetILNS1_3genE5ELNS1_11target_archE942ELNS1_3gpuE9ELNS1_3repE0EEENS1_30default_config_static_selectorELNS0_4arch9wavefront6targetE0EEEvT1_ ; -- Begin function _ZN7rocprim17ROCPRIM_400000_NS6detail17trampoline_kernelINS0_14default_configENS1_25transform_config_selectorImLb1EEEZNS1_14transform_implILb1ES3_S5_PmPlNS0_8identityIvEEEE10hipError_tT2_T3_mT4_P12ihipStream_tbEUlT_E_NS1_11comp_targetILNS1_3genE5ELNS1_11target_archE942ELNS1_3gpuE9ELNS1_3repE0EEENS1_30default_config_static_selectorELNS0_4arch9wavefront6targetE0EEEvT1_
	.globl	_ZN7rocprim17ROCPRIM_400000_NS6detail17trampoline_kernelINS0_14default_configENS1_25transform_config_selectorImLb1EEEZNS1_14transform_implILb1ES3_S5_PmPlNS0_8identityIvEEEE10hipError_tT2_T3_mT4_P12ihipStream_tbEUlT_E_NS1_11comp_targetILNS1_3genE5ELNS1_11target_archE942ELNS1_3gpuE9ELNS1_3repE0EEENS1_30default_config_static_selectorELNS0_4arch9wavefront6targetE0EEEvT1_
	.p2align	8
	.type	_ZN7rocprim17ROCPRIM_400000_NS6detail17trampoline_kernelINS0_14default_configENS1_25transform_config_selectorImLb1EEEZNS1_14transform_implILb1ES3_S5_PmPlNS0_8identityIvEEEE10hipError_tT2_T3_mT4_P12ihipStream_tbEUlT_E_NS1_11comp_targetILNS1_3genE5ELNS1_11target_archE942ELNS1_3gpuE9ELNS1_3repE0EEENS1_30default_config_static_selectorELNS0_4arch9wavefront6targetE0EEEvT1_,@function
_ZN7rocprim17ROCPRIM_400000_NS6detail17trampoline_kernelINS0_14default_configENS1_25transform_config_selectorImLb1EEEZNS1_14transform_implILb1ES3_S5_PmPlNS0_8identityIvEEEE10hipError_tT2_T3_mT4_P12ihipStream_tbEUlT_E_NS1_11comp_targetILNS1_3genE5ELNS1_11target_archE942ELNS1_3gpuE9ELNS1_3repE0EEENS1_30default_config_static_selectorELNS0_4arch9wavefront6targetE0EEEvT1_: ; @_ZN7rocprim17ROCPRIM_400000_NS6detail17trampoline_kernelINS0_14default_configENS1_25transform_config_selectorImLb1EEEZNS1_14transform_implILb1ES3_S5_PmPlNS0_8identityIvEEEE10hipError_tT2_T3_mT4_P12ihipStream_tbEUlT_E_NS1_11comp_targetILNS1_3genE5ELNS1_11target_archE942ELNS1_3gpuE9ELNS1_3repE0EEENS1_30default_config_static_selectorELNS0_4arch9wavefront6targetE0EEEvT1_
; %bb.0:
	.section	.rodata,"a",@progbits
	.p2align	6, 0x0
	.amdhsa_kernel _ZN7rocprim17ROCPRIM_400000_NS6detail17trampoline_kernelINS0_14default_configENS1_25transform_config_selectorImLb1EEEZNS1_14transform_implILb1ES3_S5_PmPlNS0_8identityIvEEEE10hipError_tT2_T3_mT4_P12ihipStream_tbEUlT_E_NS1_11comp_targetILNS1_3genE5ELNS1_11target_archE942ELNS1_3gpuE9ELNS1_3repE0EEENS1_30default_config_static_selectorELNS0_4arch9wavefront6targetE0EEEvT1_
		.amdhsa_group_segment_fixed_size 0
		.amdhsa_private_segment_fixed_size 0
		.amdhsa_kernarg_size 40
		.amdhsa_user_sgpr_count 2
		.amdhsa_user_sgpr_dispatch_ptr 0
		.amdhsa_user_sgpr_queue_ptr 0
		.amdhsa_user_sgpr_kernarg_segment_ptr 1
		.amdhsa_user_sgpr_dispatch_id 0
		.amdhsa_user_sgpr_private_segment_size 0
		.amdhsa_wavefront_size32 1
		.amdhsa_uses_dynamic_stack 0
		.amdhsa_enable_private_segment 0
		.amdhsa_system_sgpr_workgroup_id_x 1
		.amdhsa_system_sgpr_workgroup_id_y 0
		.amdhsa_system_sgpr_workgroup_id_z 0
		.amdhsa_system_sgpr_workgroup_info 0
		.amdhsa_system_vgpr_workitem_id 0
		.amdhsa_next_free_vgpr 1
		.amdhsa_next_free_sgpr 1
		.amdhsa_reserve_vcc 0
		.amdhsa_float_round_mode_32 0
		.amdhsa_float_round_mode_16_64 0
		.amdhsa_float_denorm_mode_32 3
		.amdhsa_float_denorm_mode_16_64 3
		.amdhsa_fp16_overflow 0
		.amdhsa_workgroup_processor_mode 1
		.amdhsa_memory_ordered 1
		.amdhsa_forward_progress 1
		.amdhsa_inst_pref_size 0
		.amdhsa_round_robin_scheduling 0
		.amdhsa_exception_fp_ieee_invalid_op 0
		.amdhsa_exception_fp_denorm_src 0
		.amdhsa_exception_fp_ieee_div_zero 0
		.amdhsa_exception_fp_ieee_overflow 0
		.amdhsa_exception_fp_ieee_underflow 0
		.amdhsa_exception_fp_ieee_inexact 0
		.amdhsa_exception_int_div_zero 0
	.end_amdhsa_kernel
	.section	.text._ZN7rocprim17ROCPRIM_400000_NS6detail17trampoline_kernelINS0_14default_configENS1_25transform_config_selectorImLb1EEEZNS1_14transform_implILb1ES3_S5_PmPlNS0_8identityIvEEEE10hipError_tT2_T3_mT4_P12ihipStream_tbEUlT_E_NS1_11comp_targetILNS1_3genE5ELNS1_11target_archE942ELNS1_3gpuE9ELNS1_3repE0EEENS1_30default_config_static_selectorELNS0_4arch9wavefront6targetE0EEEvT1_,"axG",@progbits,_ZN7rocprim17ROCPRIM_400000_NS6detail17trampoline_kernelINS0_14default_configENS1_25transform_config_selectorImLb1EEEZNS1_14transform_implILb1ES3_S5_PmPlNS0_8identityIvEEEE10hipError_tT2_T3_mT4_P12ihipStream_tbEUlT_E_NS1_11comp_targetILNS1_3genE5ELNS1_11target_archE942ELNS1_3gpuE9ELNS1_3repE0EEENS1_30default_config_static_selectorELNS0_4arch9wavefront6targetE0EEEvT1_,comdat
.Lfunc_end12:
	.size	_ZN7rocprim17ROCPRIM_400000_NS6detail17trampoline_kernelINS0_14default_configENS1_25transform_config_selectorImLb1EEEZNS1_14transform_implILb1ES3_S5_PmPlNS0_8identityIvEEEE10hipError_tT2_T3_mT4_P12ihipStream_tbEUlT_E_NS1_11comp_targetILNS1_3genE5ELNS1_11target_archE942ELNS1_3gpuE9ELNS1_3repE0EEENS1_30default_config_static_selectorELNS0_4arch9wavefront6targetE0EEEvT1_, .Lfunc_end12-_ZN7rocprim17ROCPRIM_400000_NS6detail17trampoline_kernelINS0_14default_configENS1_25transform_config_selectorImLb1EEEZNS1_14transform_implILb1ES3_S5_PmPlNS0_8identityIvEEEE10hipError_tT2_T3_mT4_P12ihipStream_tbEUlT_E_NS1_11comp_targetILNS1_3genE5ELNS1_11target_archE942ELNS1_3gpuE9ELNS1_3repE0EEENS1_30default_config_static_selectorELNS0_4arch9wavefront6targetE0EEEvT1_
                                        ; -- End function
	.set _ZN7rocprim17ROCPRIM_400000_NS6detail17trampoline_kernelINS0_14default_configENS1_25transform_config_selectorImLb1EEEZNS1_14transform_implILb1ES3_S5_PmPlNS0_8identityIvEEEE10hipError_tT2_T3_mT4_P12ihipStream_tbEUlT_E_NS1_11comp_targetILNS1_3genE5ELNS1_11target_archE942ELNS1_3gpuE9ELNS1_3repE0EEENS1_30default_config_static_selectorELNS0_4arch9wavefront6targetE0EEEvT1_.num_vgpr, 0
	.set _ZN7rocprim17ROCPRIM_400000_NS6detail17trampoline_kernelINS0_14default_configENS1_25transform_config_selectorImLb1EEEZNS1_14transform_implILb1ES3_S5_PmPlNS0_8identityIvEEEE10hipError_tT2_T3_mT4_P12ihipStream_tbEUlT_E_NS1_11comp_targetILNS1_3genE5ELNS1_11target_archE942ELNS1_3gpuE9ELNS1_3repE0EEENS1_30default_config_static_selectorELNS0_4arch9wavefront6targetE0EEEvT1_.num_agpr, 0
	.set _ZN7rocprim17ROCPRIM_400000_NS6detail17trampoline_kernelINS0_14default_configENS1_25transform_config_selectorImLb1EEEZNS1_14transform_implILb1ES3_S5_PmPlNS0_8identityIvEEEE10hipError_tT2_T3_mT4_P12ihipStream_tbEUlT_E_NS1_11comp_targetILNS1_3genE5ELNS1_11target_archE942ELNS1_3gpuE9ELNS1_3repE0EEENS1_30default_config_static_selectorELNS0_4arch9wavefront6targetE0EEEvT1_.numbered_sgpr, 0
	.set _ZN7rocprim17ROCPRIM_400000_NS6detail17trampoline_kernelINS0_14default_configENS1_25transform_config_selectorImLb1EEEZNS1_14transform_implILb1ES3_S5_PmPlNS0_8identityIvEEEE10hipError_tT2_T3_mT4_P12ihipStream_tbEUlT_E_NS1_11comp_targetILNS1_3genE5ELNS1_11target_archE942ELNS1_3gpuE9ELNS1_3repE0EEENS1_30default_config_static_selectorELNS0_4arch9wavefront6targetE0EEEvT1_.num_named_barrier, 0
	.set _ZN7rocprim17ROCPRIM_400000_NS6detail17trampoline_kernelINS0_14default_configENS1_25transform_config_selectorImLb1EEEZNS1_14transform_implILb1ES3_S5_PmPlNS0_8identityIvEEEE10hipError_tT2_T3_mT4_P12ihipStream_tbEUlT_E_NS1_11comp_targetILNS1_3genE5ELNS1_11target_archE942ELNS1_3gpuE9ELNS1_3repE0EEENS1_30default_config_static_selectorELNS0_4arch9wavefront6targetE0EEEvT1_.private_seg_size, 0
	.set _ZN7rocprim17ROCPRIM_400000_NS6detail17trampoline_kernelINS0_14default_configENS1_25transform_config_selectorImLb1EEEZNS1_14transform_implILb1ES3_S5_PmPlNS0_8identityIvEEEE10hipError_tT2_T3_mT4_P12ihipStream_tbEUlT_E_NS1_11comp_targetILNS1_3genE5ELNS1_11target_archE942ELNS1_3gpuE9ELNS1_3repE0EEENS1_30default_config_static_selectorELNS0_4arch9wavefront6targetE0EEEvT1_.uses_vcc, 0
	.set _ZN7rocprim17ROCPRIM_400000_NS6detail17trampoline_kernelINS0_14default_configENS1_25transform_config_selectorImLb1EEEZNS1_14transform_implILb1ES3_S5_PmPlNS0_8identityIvEEEE10hipError_tT2_T3_mT4_P12ihipStream_tbEUlT_E_NS1_11comp_targetILNS1_3genE5ELNS1_11target_archE942ELNS1_3gpuE9ELNS1_3repE0EEENS1_30default_config_static_selectorELNS0_4arch9wavefront6targetE0EEEvT1_.uses_flat_scratch, 0
	.set _ZN7rocprim17ROCPRIM_400000_NS6detail17trampoline_kernelINS0_14default_configENS1_25transform_config_selectorImLb1EEEZNS1_14transform_implILb1ES3_S5_PmPlNS0_8identityIvEEEE10hipError_tT2_T3_mT4_P12ihipStream_tbEUlT_E_NS1_11comp_targetILNS1_3genE5ELNS1_11target_archE942ELNS1_3gpuE9ELNS1_3repE0EEENS1_30default_config_static_selectorELNS0_4arch9wavefront6targetE0EEEvT1_.has_dyn_sized_stack, 0
	.set _ZN7rocprim17ROCPRIM_400000_NS6detail17trampoline_kernelINS0_14default_configENS1_25transform_config_selectorImLb1EEEZNS1_14transform_implILb1ES3_S5_PmPlNS0_8identityIvEEEE10hipError_tT2_T3_mT4_P12ihipStream_tbEUlT_E_NS1_11comp_targetILNS1_3genE5ELNS1_11target_archE942ELNS1_3gpuE9ELNS1_3repE0EEENS1_30default_config_static_selectorELNS0_4arch9wavefront6targetE0EEEvT1_.has_recursion, 0
	.set _ZN7rocprim17ROCPRIM_400000_NS6detail17trampoline_kernelINS0_14default_configENS1_25transform_config_selectorImLb1EEEZNS1_14transform_implILb1ES3_S5_PmPlNS0_8identityIvEEEE10hipError_tT2_T3_mT4_P12ihipStream_tbEUlT_E_NS1_11comp_targetILNS1_3genE5ELNS1_11target_archE942ELNS1_3gpuE9ELNS1_3repE0EEENS1_30default_config_static_selectorELNS0_4arch9wavefront6targetE0EEEvT1_.has_indirect_call, 0
	.section	.AMDGPU.csdata,"",@progbits
; Kernel info:
; codeLenInByte = 0
; TotalNumSgprs: 0
; NumVgprs: 0
; ScratchSize: 0
; MemoryBound: 0
; FloatMode: 240
; IeeeMode: 1
; LDSByteSize: 0 bytes/workgroup (compile time only)
; SGPRBlocks: 0
; VGPRBlocks: 0
; NumSGPRsForWavesPerEU: 1
; NumVGPRsForWavesPerEU: 1
; Occupancy: 16
; WaveLimiterHint : 0
; COMPUTE_PGM_RSRC2:SCRATCH_EN: 0
; COMPUTE_PGM_RSRC2:USER_SGPR: 2
; COMPUTE_PGM_RSRC2:TRAP_HANDLER: 0
; COMPUTE_PGM_RSRC2:TGID_X_EN: 1
; COMPUTE_PGM_RSRC2:TGID_Y_EN: 0
; COMPUTE_PGM_RSRC2:TGID_Z_EN: 0
; COMPUTE_PGM_RSRC2:TIDIG_COMP_CNT: 0
	.section	.text._ZN7rocprim17ROCPRIM_400000_NS6detail17trampoline_kernelINS0_14default_configENS1_25transform_config_selectorImLb1EEEZNS1_14transform_implILb1ES3_S5_PmPlNS0_8identityIvEEEE10hipError_tT2_T3_mT4_P12ihipStream_tbEUlT_E_NS1_11comp_targetILNS1_3genE4ELNS1_11target_archE910ELNS1_3gpuE8ELNS1_3repE0EEENS1_30default_config_static_selectorELNS0_4arch9wavefront6targetE0EEEvT1_,"axG",@progbits,_ZN7rocprim17ROCPRIM_400000_NS6detail17trampoline_kernelINS0_14default_configENS1_25transform_config_selectorImLb1EEEZNS1_14transform_implILb1ES3_S5_PmPlNS0_8identityIvEEEE10hipError_tT2_T3_mT4_P12ihipStream_tbEUlT_E_NS1_11comp_targetILNS1_3genE4ELNS1_11target_archE910ELNS1_3gpuE8ELNS1_3repE0EEENS1_30default_config_static_selectorELNS0_4arch9wavefront6targetE0EEEvT1_,comdat
	.protected	_ZN7rocprim17ROCPRIM_400000_NS6detail17trampoline_kernelINS0_14default_configENS1_25transform_config_selectorImLb1EEEZNS1_14transform_implILb1ES3_S5_PmPlNS0_8identityIvEEEE10hipError_tT2_T3_mT4_P12ihipStream_tbEUlT_E_NS1_11comp_targetILNS1_3genE4ELNS1_11target_archE910ELNS1_3gpuE8ELNS1_3repE0EEENS1_30default_config_static_selectorELNS0_4arch9wavefront6targetE0EEEvT1_ ; -- Begin function _ZN7rocprim17ROCPRIM_400000_NS6detail17trampoline_kernelINS0_14default_configENS1_25transform_config_selectorImLb1EEEZNS1_14transform_implILb1ES3_S5_PmPlNS0_8identityIvEEEE10hipError_tT2_T3_mT4_P12ihipStream_tbEUlT_E_NS1_11comp_targetILNS1_3genE4ELNS1_11target_archE910ELNS1_3gpuE8ELNS1_3repE0EEENS1_30default_config_static_selectorELNS0_4arch9wavefront6targetE0EEEvT1_
	.globl	_ZN7rocprim17ROCPRIM_400000_NS6detail17trampoline_kernelINS0_14default_configENS1_25transform_config_selectorImLb1EEEZNS1_14transform_implILb1ES3_S5_PmPlNS0_8identityIvEEEE10hipError_tT2_T3_mT4_P12ihipStream_tbEUlT_E_NS1_11comp_targetILNS1_3genE4ELNS1_11target_archE910ELNS1_3gpuE8ELNS1_3repE0EEENS1_30default_config_static_selectorELNS0_4arch9wavefront6targetE0EEEvT1_
	.p2align	8
	.type	_ZN7rocprim17ROCPRIM_400000_NS6detail17trampoline_kernelINS0_14default_configENS1_25transform_config_selectorImLb1EEEZNS1_14transform_implILb1ES3_S5_PmPlNS0_8identityIvEEEE10hipError_tT2_T3_mT4_P12ihipStream_tbEUlT_E_NS1_11comp_targetILNS1_3genE4ELNS1_11target_archE910ELNS1_3gpuE8ELNS1_3repE0EEENS1_30default_config_static_selectorELNS0_4arch9wavefront6targetE0EEEvT1_,@function
_ZN7rocprim17ROCPRIM_400000_NS6detail17trampoline_kernelINS0_14default_configENS1_25transform_config_selectorImLb1EEEZNS1_14transform_implILb1ES3_S5_PmPlNS0_8identityIvEEEE10hipError_tT2_T3_mT4_P12ihipStream_tbEUlT_E_NS1_11comp_targetILNS1_3genE4ELNS1_11target_archE910ELNS1_3gpuE8ELNS1_3repE0EEENS1_30default_config_static_selectorELNS0_4arch9wavefront6targetE0EEEvT1_: ; @_ZN7rocprim17ROCPRIM_400000_NS6detail17trampoline_kernelINS0_14default_configENS1_25transform_config_selectorImLb1EEEZNS1_14transform_implILb1ES3_S5_PmPlNS0_8identityIvEEEE10hipError_tT2_T3_mT4_P12ihipStream_tbEUlT_E_NS1_11comp_targetILNS1_3genE4ELNS1_11target_archE910ELNS1_3gpuE8ELNS1_3repE0EEENS1_30default_config_static_selectorELNS0_4arch9wavefront6targetE0EEEvT1_
; %bb.0:
	.section	.rodata,"a",@progbits
	.p2align	6, 0x0
	.amdhsa_kernel _ZN7rocprim17ROCPRIM_400000_NS6detail17trampoline_kernelINS0_14default_configENS1_25transform_config_selectorImLb1EEEZNS1_14transform_implILb1ES3_S5_PmPlNS0_8identityIvEEEE10hipError_tT2_T3_mT4_P12ihipStream_tbEUlT_E_NS1_11comp_targetILNS1_3genE4ELNS1_11target_archE910ELNS1_3gpuE8ELNS1_3repE0EEENS1_30default_config_static_selectorELNS0_4arch9wavefront6targetE0EEEvT1_
		.amdhsa_group_segment_fixed_size 0
		.amdhsa_private_segment_fixed_size 0
		.amdhsa_kernarg_size 40
		.amdhsa_user_sgpr_count 2
		.amdhsa_user_sgpr_dispatch_ptr 0
		.amdhsa_user_sgpr_queue_ptr 0
		.amdhsa_user_sgpr_kernarg_segment_ptr 1
		.amdhsa_user_sgpr_dispatch_id 0
		.amdhsa_user_sgpr_private_segment_size 0
		.amdhsa_wavefront_size32 1
		.amdhsa_uses_dynamic_stack 0
		.amdhsa_enable_private_segment 0
		.amdhsa_system_sgpr_workgroup_id_x 1
		.amdhsa_system_sgpr_workgroup_id_y 0
		.amdhsa_system_sgpr_workgroup_id_z 0
		.amdhsa_system_sgpr_workgroup_info 0
		.amdhsa_system_vgpr_workitem_id 0
		.amdhsa_next_free_vgpr 1
		.amdhsa_next_free_sgpr 1
		.amdhsa_reserve_vcc 0
		.amdhsa_float_round_mode_32 0
		.amdhsa_float_round_mode_16_64 0
		.amdhsa_float_denorm_mode_32 3
		.amdhsa_float_denorm_mode_16_64 3
		.amdhsa_fp16_overflow 0
		.amdhsa_workgroup_processor_mode 1
		.amdhsa_memory_ordered 1
		.amdhsa_forward_progress 1
		.amdhsa_inst_pref_size 0
		.amdhsa_round_robin_scheduling 0
		.amdhsa_exception_fp_ieee_invalid_op 0
		.amdhsa_exception_fp_denorm_src 0
		.amdhsa_exception_fp_ieee_div_zero 0
		.amdhsa_exception_fp_ieee_overflow 0
		.amdhsa_exception_fp_ieee_underflow 0
		.amdhsa_exception_fp_ieee_inexact 0
		.amdhsa_exception_int_div_zero 0
	.end_amdhsa_kernel
	.section	.text._ZN7rocprim17ROCPRIM_400000_NS6detail17trampoline_kernelINS0_14default_configENS1_25transform_config_selectorImLb1EEEZNS1_14transform_implILb1ES3_S5_PmPlNS0_8identityIvEEEE10hipError_tT2_T3_mT4_P12ihipStream_tbEUlT_E_NS1_11comp_targetILNS1_3genE4ELNS1_11target_archE910ELNS1_3gpuE8ELNS1_3repE0EEENS1_30default_config_static_selectorELNS0_4arch9wavefront6targetE0EEEvT1_,"axG",@progbits,_ZN7rocprim17ROCPRIM_400000_NS6detail17trampoline_kernelINS0_14default_configENS1_25transform_config_selectorImLb1EEEZNS1_14transform_implILb1ES3_S5_PmPlNS0_8identityIvEEEE10hipError_tT2_T3_mT4_P12ihipStream_tbEUlT_E_NS1_11comp_targetILNS1_3genE4ELNS1_11target_archE910ELNS1_3gpuE8ELNS1_3repE0EEENS1_30default_config_static_selectorELNS0_4arch9wavefront6targetE0EEEvT1_,comdat
.Lfunc_end13:
	.size	_ZN7rocprim17ROCPRIM_400000_NS6detail17trampoline_kernelINS0_14default_configENS1_25transform_config_selectorImLb1EEEZNS1_14transform_implILb1ES3_S5_PmPlNS0_8identityIvEEEE10hipError_tT2_T3_mT4_P12ihipStream_tbEUlT_E_NS1_11comp_targetILNS1_3genE4ELNS1_11target_archE910ELNS1_3gpuE8ELNS1_3repE0EEENS1_30default_config_static_selectorELNS0_4arch9wavefront6targetE0EEEvT1_, .Lfunc_end13-_ZN7rocprim17ROCPRIM_400000_NS6detail17trampoline_kernelINS0_14default_configENS1_25transform_config_selectorImLb1EEEZNS1_14transform_implILb1ES3_S5_PmPlNS0_8identityIvEEEE10hipError_tT2_T3_mT4_P12ihipStream_tbEUlT_E_NS1_11comp_targetILNS1_3genE4ELNS1_11target_archE910ELNS1_3gpuE8ELNS1_3repE0EEENS1_30default_config_static_selectorELNS0_4arch9wavefront6targetE0EEEvT1_
                                        ; -- End function
	.set _ZN7rocprim17ROCPRIM_400000_NS6detail17trampoline_kernelINS0_14default_configENS1_25transform_config_selectorImLb1EEEZNS1_14transform_implILb1ES3_S5_PmPlNS0_8identityIvEEEE10hipError_tT2_T3_mT4_P12ihipStream_tbEUlT_E_NS1_11comp_targetILNS1_3genE4ELNS1_11target_archE910ELNS1_3gpuE8ELNS1_3repE0EEENS1_30default_config_static_selectorELNS0_4arch9wavefront6targetE0EEEvT1_.num_vgpr, 0
	.set _ZN7rocprim17ROCPRIM_400000_NS6detail17trampoline_kernelINS0_14default_configENS1_25transform_config_selectorImLb1EEEZNS1_14transform_implILb1ES3_S5_PmPlNS0_8identityIvEEEE10hipError_tT2_T3_mT4_P12ihipStream_tbEUlT_E_NS1_11comp_targetILNS1_3genE4ELNS1_11target_archE910ELNS1_3gpuE8ELNS1_3repE0EEENS1_30default_config_static_selectorELNS0_4arch9wavefront6targetE0EEEvT1_.num_agpr, 0
	.set _ZN7rocprim17ROCPRIM_400000_NS6detail17trampoline_kernelINS0_14default_configENS1_25transform_config_selectorImLb1EEEZNS1_14transform_implILb1ES3_S5_PmPlNS0_8identityIvEEEE10hipError_tT2_T3_mT4_P12ihipStream_tbEUlT_E_NS1_11comp_targetILNS1_3genE4ELNS1_11target_archE910ELNS1_3gpuE8ELNS1_3repE0EEENS1_30default_config_static_selectorELNS0_4arch9wavefront6targetE0EEEvT1_.numbered_sgpr, 0
	.set _ZN7rocprim17ROCPRIM_400000_NS6detail17trampoline_kernelINS0_14default_configENS1_25transform_config_selectorImLb1EEEZNS1_14transform_implILb1ES3_S5_PmPlNS0_8identityIvEEEE10hipError_tT2_T3_mT4_P12ihipStream_tbEUlT_E_NS1_11comp_targetILNS1_3genE4ELNS1_11target_archE910ELNS1_3gpuE8ELNS1_3repE0EEENS1_30default_config_static_selectorELNS0_4arch9wavefront6targetE0EEEvT1_.num_named_barrier, 0
	.set _ZN7rocprim17ROCPRIM_400000_NS6detail17trampoline_kernelINS0_14default_configENS1_25transform_config_selectorImLb1EEEZNS1_14transform_implILb1ES3_S5_PmPlNS0_8identityIvEEEE10hipError_tT2_T3_mT4_P12ihipStream_tbEUlT_E_NS1_11comp_targetILNS1_3genE4ELNS1_11target_archE910ELNS1_3gpuE8ELNS1_3repE0EEENS1_30default_config_static_selectorELNS0_4arch9wavefront6targetE0EEEvT1_.private_seg_size, 0
	.set _ZN7rocprim17ROCPRIM_400000_NS6detail17trampoline_kernelINS0_14default_configENS1_25transform_config_selectorImLb1EEEZNS1_14transform_implILb1ES3_S5_PmPlNS0_8identityIvEEEE10hipError_tT2_T3_mT4_P12ihipStream_tbEUlT_E_NS1_11comp_targetILNS1_3genE4ELNS1_11target_archE910ELNS1_3gpuE8ELNS1_3repE0EEENS1_30default_config_static_selectorELNS0_4arch9wavefront6targetE0EEEvT1_.uses_vcc, 0
	.set _ZN7rocprim17ROCPRIM_400000_NS6detail17trampoline_kernelINS0_14default_configENS1_25transform_config_selectorImLb1EEEZNS1_14transform_implILb1ES3_S5_PmPlNS0_8identityIvEEEE10hipError_tT2_T3_mT4_P12ihipStream_tbEUlT_E_NS1_11comp_targetILNS1_3genE4ELNS1_11target_archE910ELNS1_3gpuE8ELNS1_3repE0EEENS1_30default_config_static_selectorELNS0_4arch9wavefront6targetE0EEEvT1_.uses_flat_scratch, 0
	.set _ZN7rocprim17ROCPRIM_400000_NS6detail17trampoline_kernelINS0_14default_configENS1_25transform_config_selectorImLb1EEEZNS1_14transform_implILb1ES3_S5_PmPlNS0_8identityIvEEEE10hipError_tT2_T3_mT4_P12ihipStream_tbEUlT_E_NS1_11comp_targetILNS1_3genE4ELNS1_11target_archE910ELNS1_3gpuE8ELNS1_3repE0EEENS1_30default_config_static_selectorELNS0_4arch9wavefront6targetE0EEEvT1_.has_dyn_sized_stack, 0
	.set _ZN7rocprim17ROCPRIM_400000_NS6detail17trampoline_kernelINS0_14default_configENS1_25transform_config_selectorImLb1EEEZNS1_14transform_implILb1ES3_S5_PmPlNS0_8identityIvEEEE10hipError_tT2_T3_mT4_P12ihipStream_tbEUlT_E_NS1_11comp_targetILNS1_3genE4ELNS1_11target_archE910ELNS1_3gpuE8ELNS1_3repE0EEENS1_30default_config_static_selectorELNS0_4arch9wavefront6targetE0EEEvT1_.has_recursion, 0
	.set _ZN7rocprim17ROCPRIM_400000_NS6detail17trampoline_kernelINS0_14default_configENS1_25transform_config_selectorImLb1EEEZNS1_14transform_implILb1ES3_S5_PmPlNS0_8identityIvEEEE10hipError_tT2_T3_mT4_P12ihipStream_tbEUlT_E_NS1_11comp_targetILNS1_3genE4ELNS1_11target_archE910ELNS1_3gpuE8ELNS1_3repE0EEENS1_30default_config_static_selectorELNS0_4arch9wavefront6targetE0EEEvT1_.has_indirect_call, 0
	.section	.AMDGPU.csdata,"",@progbits
; Kernel info:
; codeLenInByte = 0
; TotalNumSgprs: 0
; NumVgprs: 0
; ScratchSize: 0
; MemoryBound: 0
; FloatMode: 240
; IeeeMode: 1
; LDSByteSize: 0 bytes/workgroup (compile time only)
; SGPRBlocks: 0
; VGPRBlocks: 0
; NumSGPRsForWavesPerEU: 1
; NumVGPRsForWavesPerEU: 1
; Occupancy: 16
; WaveLimiterHint : 0
; COMPUTE_PGM_RSRC2:SCRATCH_EN: 0
; COMPUTE_PGM_RSRC2:USER_SGPR: 2
; COMPUTE_PGM_RSRC2:TRAP_HANDLER: 0
; COMPUTE_PGM_RSRC2:TGID_X_EN: 1
; COMPUTE_PGM_RSRC2:TGID_Y_EN: 0
; COMPUTE_PGM_RSRC2:TGID_Z_EN: 0
; COMPUTE_PGM_RSRC2:TIDIG_COMP_CNT: 0
	.section	.text._ZN7rocprim17ROCPRIM_400000_NS6detail17trampoline_kernelINS0_14default_configENS1_25transform_config_selectorImLb1EEEZNS1_14transform_implILb1ES3_S5_PmPlNS0_8identityIvEEEE10hipError_tT2_T3_mT4_P12ihipStream_tbEUlT_E_NS1_11comp_targetILNS1_3genE3ELNS1_11target_archE908ELNS1_3gpuE7ELNS1_3repE0EEENS1_30default_config_static_selectorELNS0_4arch9wavefront6targetE0EEEvT1_,"axG",@progbits,_ZN7rocprim17ROCPRIM_400000_NS6detail17trampoline_kernelINS0_14default_configENS1_25transform_config_selectorImLb1EEEZNS1_14transform_implILb1ES3_S5_PmPlNS0_8identityIvEEEE10hipError_tT2_T3_mT4_P12ihipStream_tbEUlT_E_NS1_11comp_targetILNS1_3genE3ELNS1_11target_archE908ELNS1_3gpuE7ELNS1_3repE0EEENS1_30default_config_static_selectorELNS0_4arch9wavefront6targetE0EEEvT1_,comdat
	.protected	_ZN7rocprim17ROCPRIM_400000_NS6detail17trampoline_kernelINS0_14default_configENS1_25transform_config_selectorImLb1EEEZNS1_14transform_implILb1ES3_S5_PmPlNS0_8identityIvEEEE10hipError_tT2_T3_mT4_P12ihipStream_tbEUlT_E_NS1_11comp_targetILNS1_3genE3ELNS1_11target_archE908ELNS1_3gpuE7ELNS1_3repE0EEENS1_30default_config_static_selectorELNS0_4arch9wavefront6targetE0EEEvT1_ ; -- Begin function _ZN7rocprim17ROCPRIM_400000_NS6detail17trampoline_kernelINS0_14default_configENS1_25transform_config_selectorImLb1EEEZNS1_14transform_implILb1ES3_S5_PmPlNS0_8identityIvEEEE10hipError_tT2_T3_mT4_P12ihipStream_tbEUlT_E_NS1_11comp_targetILNS1_3genE3ELNS1_11target_archE908ELNS1_3gpuE7ELNS1_3repE0EEENS1_30default_config_static_selectorELNS0_4arch9wavefront6targetE0EEEvT1_
	.globl	_ZN7rocprim17ROCPRIM_400000_NS6detail17trampoline_kernelINS0_14default_configENS1_25transform_config_selectorImLb1EEEZNS1_14transform_implILb1ES3_S5_PmPlNS0_8identityIvEEEE10hipError_tT2_T3_mT4_P12ihipStream_tbEUlT_E_NS1_11comp_targetILNS1_3genE3ELNS1_11target_archE908ELNS1_3gpuE7ELNS1_3repE0EEENS1_30default_config_static_selectorELNS0_4arch9wavefront6targetE0EEEvT1_
	.p2align	8
	.type	_ZN7rocprim17ROCPRIM_400000_NS6detail17trampoline_kernelINS0_14default_configENS1_25transform_config_selectorImLb1EEEZNS1_14transform_implILb1ES3_S5_PmPlNS0_8identityIvEEEE10hipError_tT2_T3_mT4_P12ihipStream_tbEUlT_E_NS1_11comp_targetILNS1_3genE3ELNS1_11target_archE908ELNS1_3gpuE7ELNS1_3repE0EEENS1_30default_config_static_selectorELNS0_4arch9wavefront6targetE0EEEvT1_,@function
_ZN7rocprim17ROCPRIM_400000_NS6detail17trampoline_kernelINS0_14default_configENS1_25transform_config_selectorImLb1EEEZNS1_14transform_implILb1ES3_S5_PmPlNS0_8identityIvEEEE10hipError_tT2_T3_mT4_P12ihipStream_tbEUlT_E_NS1_11comp_targetILNS1_3genE3ELNS1_11target_archE908ELNS1_3gpuE7ELNS1_3repE0EEENS1_30default_config_static_selectorELNS0_4arch9wavefront6targetE0EEEvT1_: ; @_ZN7rocprim17ROCPRIM_400000_NS6detail17trampoline_kernelINS0_14default_configENS1_25transform_config_selectorImLb1EEEZNS1_14transform_implILb1ES3_S5_PmPlNS0_8identityIvEEEE10hipError_tT2_T3_mT4_P12ihipStream_tbEUlT_E_NS1_11comp_targetILNS1_3genE3ELNS1_11target_archE908ELNS1_3gpuE7ELNS1_3repE0EEENS1_30default_config_static_selectorELNS0_4arch9wavefront6targetE0EEEvT1_
; %bb.0:
	.section	.rodata,"a",@progbits
	.p2align	6, 0x0
	.amdhsa_kernel _ZN7rocprim17ROCPRIM_400000_NS6detail17trampoline_kernelINS0_14default_configENS1_25transform_config_selectorImLb1EEEZNS1_14transform_implILb1ES3_S5_PmPlNS0_8identityIvEEEE10hipError_tT2_T3_mT4_P12ihipStream_tbEUlT_E_NS1_11comp_targetILNS1_3genE3ELNS1_11target_archE908ELNS1_3gpuE7ELNS1_3repE0EEENS1_30default_config_static_selectorELNS0_4arch9wavefront6targetE0EEEvT1_
		.amdhsa_group_segment_fixed_size 0
		.amdhsa_private_segment_fixed_size 0
		.amdhsa_kernarg_size 40
		.amdhsa_user_sgpr_count 2
		.amdhsa_user_sgpr_dispatch_ptr 0
		.amdhsa_user_sgpr_queue_ptr 0
		.amdhsa_user_sgpr_kernarg_segment_ptr 1
		.amdhsa_user_sgpr_dispatch_id 0
		.amdhsa_user_sgpr_private_segment_size 0
		.amdhsa_wavefront_size32 1
		.amdhsa_uses_dynamic_stack 0
		.amdhsa_enable_private_segment 0
		.amdhsa_system_sgpr_workgroup_id_x 1
		.amdhsa_system_sgpr_workgroup_id_y 0
		.amdhsa_system_sgpr_workgroup_id_z 0
		.amdhsa_system_sgpr_workgroup_info 0
		.amdhsa_system_vgpr_workitem_id 0
		.amdhsa_next_free_vgpr 1
		.amdhsa_next_free_sgpr 1
		.amdhsa_reserve_vcc 0
		.amdhsa_float_round_mode_32 0
		.amdhsa_float_round_mode_16_64 0
		.amdhsa_float_denorm_mode_32 3
		.amdhsa_float_denorm_mode_16_64 3
		.amdhsa_fp16_overflow 0
		.amdhsa_workgroup_processor_mode 1
		.amdhsa_memory_ordered 1
		.amdhsa_forward_progress 1
		.amdhsa_inst_pref_size 0
		.amdhsa_round_robin_scheduling 0
		.amdhsa_exception_fp_ieee_invalid_op 0
		.amdhsa_exception_fp_denorm_src 0
		.amdhsa_exception_fp_ieee_div_zero 0
		.amdhsa_exception_fp_ieee_overflow 0
		.amdhsa_exception_fp_ieee_underflow 0
		.amdhsa_exception_fp_ieee_inexact 0
		.amdhsa_exception_int_div_zero 0
	.end_amdhsa_kernel
	.section	.text._ZN7rocprim17ROCPRIM_400000_NS6detail17trampoline_kernelINS0_14default_configENS1_25transform_config_selectorImLb1EEEZNS1_14transform_implILb1ES3_S5_PmPlNS0_8identityIvEEEE10hipError_tT2_T3_mT4_P12ihipStream_tbEUlT_E_NS1_11comp_targetILNS1_3genE3ELNS1_11target_archE908ELNS1_3gpuE7ELNS1_3repE0EEENS1_30default_config_static_selectorELNS0_4arch9wavefront6targetE0EEEvT1_,"axG",@progbits,_ZN7rocprim17ROCPRIM_400000_NS6detail17trampoline_kernelINS0_14default_configENS1_25transform_config_selectorImLb1EEEZNS1_14transform_implILb1ES3_S5_PmPlNS0_8identityIvEEEE10hipError_tT2_T3_mT4_P12ihipStream_tbEUlT_E_NS1_11comp_targetILNS1_3genE3ELNS1_11target_archE908ELNS1_3gpuE7ELNS1_3repE0EEENS1_30default_config_static_selectorELNS0_4arch9wavefront6targetE0EEEvT1_,comdat
.Lfunc_end14:
	.size	_ZN7rocprim17ROCPRIM_400000_NS6detail17trampoline_kernelINS0_14default_configENS1_25transform_config_selectorImLb1EEEZNS1_14transform_implILb1ES3_S5_PmPlNS0_8identityIvEEEE10hipError_tT2_T3_mT4_P12ihipStream_tbEUlT_E_NS1_11comp_targetILNS1_3genE3ELNS1_11target_archE908ELNS1_3gpuE7ELNS1_3repE0EEENS1_30default_config_static_selectorELNS0_4arch9wavefront6targetE0EEEvT1_, .Lfunc_end14-_ZN7rocprim17ROCPRIM_400000_NS6detail17trampoline_kernelINS0_14default_configENS1_25transform_config_selectorImLb1EEEZNS1_14transform_implILb1ES3_S5_PmPlNS0_8identityIvEEEE10hipError_tT2_T3_mT4_P12ihipStream_tbEUlT_E_NS1_11comp_targetILNS1_3genE3ELNS1_11target_archE908ELNS1_3gpuE7ELNS1_3repE0EEENS1_30default_config_static_selectorELNS0_4arch9wavefront6targetE0EEEvT1_
                                        ; -- End function
	.set _ZN7rocprim17ROCPRIM_400000_NS6detail17trampoline_kernelINS0_14default_configENS1_25transform_config_selectorImLb1EEEZNS1_14transform_implILb1ES3_S5_PmPlNS0_8identityIvEEEE10hipError_tT2_T3_mT4_P12ihipStream_tbEUlT_E_NS1_11comp_targetILNS1_3genE3ELNS1_11target_archE908ELNS1_3gpuE7ELNS1_3repE0EEENS1_30default_config_static_selectorELNS0_4arch9wavefront6targetE0EEEvT1_.num_vgpr, 0
	.set _ZN7rocprim17ROCPRIM_400000_NS6detail17trampoline_kernelINS0_14default_configENS1_25transform_config_selectorImLb1EEEZNS1_14transform_implILb1ES3_S5_PmPlNS0_8identityIvEEEE10hipError_tT2_T3_mT4_P12ihipStream_tbEUlT_E_NS1_11comp_targetILNS1_3genE3ELNS1_11target_archE908ELNS1_3gpuE7ELNS1_3repE0EEENS1_30default_config_static_selectorELNS0_4arch9wavefront6targetE0EEEvT1_.num_agpr, 0
	.set _ZN7rocprim17ROCPRIM_400000_NS6detail17trampoline_kernelINS0_14default_configENS1_25transform_config_selectorImLb1EEEZNS1_14transform_implILb1ES3_S5_PmPlNS0_8identityIvEEEE10hipError_tT2_T3_mT4_P12ihipStream_tbEUlT_E_NS1_11comp_targetILNS1_3genE3ELNS1_11target_archE908ELNS1_3gpuE7ELNS1_3repE0EEENS1_30default_config_static_selectorELNS0_4arch9wavefront6targetE0EEEvT1_.numbered_sgpr, 0
	.set _ZN7rocprim17ROCPRIM_400000_NS6detail17trampoline_kernelINS0_14default_configENS1_25transform_config_selectorImLb1EEEZNS1_14transform_implILb1ES3_S5_PmPlNS0_8identityIvEEEE10hipError_tT2_T3_mT4_P12ihipStream_tbEUlT_E_NS1_11comp_targetILNS1_3genE3ELNS1_11target_archE908ELNS1_3gpuE7ELNS1_3repE0EEENS1_30default_config_static_selectorELNS0_4arch9wavefront6targetE0EEEvT1_.num_named_barrier, 0
	.set _ZN7rocprim17ROCPRIM_400000_NS6detail17trampoline_kernelINS0_14default_configENS1_25transform_config_selectorImLb1EEEZNS1_14transform_implILb1ES3_S5_PmPlNS0_8identityIvEEEE10hipError_tT2_T3_mT4_P12ihipStream_tbEUlT_E_NS1_11comp_targetILNS1_3genE3ELNS1_11target_archE908ELNS1_3gpuE7ELNS1_3repE0EEENS1_30default_config_static_selectorELNS0_4arch9wavefront6targetE0EEEvT1_.private_seg_size, 0
	.set _ZN7rocprim17ROCPRIM_400000_NS6detail17trampoline_kernelINS0_14default_configENS1_25transform_config_selectorImLb1EEEZNS1_14transform_implILb1ES3_S5_PmPlNS0_8identityIvEEEE10hipError_tT2_T3_mT4_P12ihipStream_tbEUlT_E_NS1_11comp_targetILNS1_3genE3ELNS1_11target_archE908ELNS1_3gpuE7ELNS1_3repE0EEENS1_30default_config_static_selectorELNS0_4arch9wavefront6targetE0EEEvT1_.uses_vcc, 0
	.set _ZN7rocprim17ROCPRIM_400000_NS6detail17trampoline_kernelINS0_14default_configENS1_25transform_config_selectorImLb1EEEZNS1_14transform_implILb1ES3_S5_PmPlNS0_8identityIvEEEE10hipError_tT2_T3_mT4_P12ihipStream_tbEUlT_E_NS1_11comp_targetILNS1_3genE3ELNS1_11target_archE908ELNS1_3gpuE7ELNS1_3repE0EEENS1_30default_config_static_selectorELNS0_4arch9wavefront6targetE0EEEvT1_.uses_flat_scratch, 0
	.set _ZN7rocprim17ROCPRIM_400000_NS6detail17trampoline_kernelINS0_14default_configENS1_25transform_config_selectorImLb1EEEZNS1_14transform_implILb1ES3_S5_PmPlNS0_8identityIvEEEE10hipError_tT2_T3_mT4_P12ihipStream_tbEUlT_E_NS1_11comp_targetILNS1_3genE3ELNS1_11target_archE908ELNS1_3gpuE7ELNS1_3repE0EEENS1_30default_config_static_selectorELNS0_4arch9wavefront6targetE0EEEvT1_.has_dyn_sized_stack, 0
	.set _ZN7rocprim17ROCPRIM_400000_NS6detail17trampoline_kernelINS0_14default_configENS1_25transform_config_selectorImLb1EEEZNS1_14transform_implILb1ES3_S5_PmPlNS0_8identityIvEEEE10hipError_tT2_T3_mT4_P12ihipStream_tbEUlT_E_NS1_11comp_targetILNS1_3genE3ELNS1_11target_archE908ELNS1_3gpuE7ELNS1_3repE0EEENS1_30default_config_static_selectorELNS0_4arch9wavefront6targetE0EEEvT1_.has_recursion, 0
	.set _ZN7rocprim17ROCPRIM_400000_NS6detail17trampoline_kernelINS0_14default_configENS1_25transform_config_selectorImLb1EEEZNS1_14transform_implILb1ES3_S5_PmPlNS0_8identityIvEEEE10hipError_tT2_T3_mT4_P12ihipStream_tbEUlT_E_NS1_11comp_targetILNS1_3genE3ELNS1_11target_archE908ELNS1_3gpuE7ELNS1_3repE0EEENS1_30default_config_static_selectorELNS0_4arch9wavefront6targetE0EEEvT1_.has_indirect_call, 0
	.section	.AMDGPU.csdata,"",@progbits
; Kernel info:
; codeLenInByte = 0
; TotalNumSgprs: 0
; NumVgprs: 0
; ScratchSize: 0
; MemoryBound: 0
; FloatMode: 240
; IeeeMode: 1
; LDSByteSize: 0 bytes/workgroup (compile time only)
; SGPRBlocks: 0
; VGPRBlocks: 0
; NumSGPRsForWavesPerEU: 1
; NumVGPRsForWavesPerEU: 1
; Occupancy: 16
; WaveLimiterHint : 0
; COMPUTE_PGM_RSRC2:SCRATCH_EN: 0
; COMPUTE_PGM_RSRC2:USER_SGPR: 2
; COMPUTE_PGM_RSRC2:TRAP_HANDLER: 0
; COMPUTE_PGM_RSRC2:TGID_X_EN: 1
; COMPUTE_PGM_RSRC2:TGID_Y_EN: 0
; COMPUTE_PGM_RSRC2:TGID_Z_EN: 0
; COMPUTE_PGM_RSRC2:TIDIG_COMP_CNT: 0
	.section	.text._ZN7rocprim17ROCPRIM_400000_NS6detail17trampoline_kernelINS0_14default_configENS1_25transform_config_selectorImLb1EEEZNS1_14transform_implILb1ES3_S5_PmPlNS0_8identityIvEEEE10hipError_tT2_T3_mT4_P12ihipStream_tbEUlT_E_NS1_11comp_targetILNS1_3genE2ELNS1_11target_archE906ELNS1_3gpuE6ELNS1_3repE0EEENS1_30default_config_static_selectorELNS0_4arch9wavefront6targetE0EEEvT1_,"axG",@progbits,_ZN7rocprim17ROCPRIM_400000_NS6detail17trampoline_kernelINS0_14default_configENS1_25transform_config_selectorImLb1EEEZNS1_14transform_implILb1ES3_S5_PmPlNS0_8identityIvEEEE10hipError_tT2_T3_mT4_P12ihipStream_tbEUlT_E_NS1_11comp_targetILNS1_3genE2ELNS1_11target_archE906ELNS1_3gpuE6ELNS1_3repE0EEENS1_30default_config_static_selectorELNS0_4arch9wavefront6targetE0EEEvT1_,comdat
	.protected	_ZN7rocprim17ROCPRIM_400000_NS6detail17trampoline_kernelINS0_14default_configENS1_25transform_config_selectorImLb1EEEZNS1_14transform_implILb1ES3_S5_PmPlNS0_8identityIvEEEE10hipError_tT2_T3_mT4_P12ihipStream_tbEUlT_E_NS1_11comp_targetILNS1_3genE2ELNS1_11target_archE906ELNS1_3gpuE6ELNS1_3repE0EEENS1_30default_config_static_selectorELNS0_4arch9wavefront6targetE0EEEvT1_ ; -- Begin function _ZN7rocprim17ROCPRIM_400000_NS6detail17trampoline_kernelINS0_14default_configENS1_25transform_config_selectorImLb1EEEZNS1_14transform_implILb1ES3_S5_PmPlNS0_8identityIvEEEE10hipError_tT2_T3_mT4_P12ihipStream_tbEUlT_E_NS1_11comp_targetILNS1_3genE2ELNS1_11target_archE906ELNS1_3gpuE6ELNS1_3repE0EEENS1_30default_config_static_selectorELNS0_4arch9wavefront6targetE0EEEvT1_
	.globl	_ZN7rocprim17ROCPRIM_400000_NS6detail17trampoline_kernelINS0_14default_configENS1_25transform_config_selectorImLb1EEEZNS1_14transform_implILb1ES3_S5_PmPlNS0_8identityIvEEEE10hipError_tT2_T3_mT4_P12ihipStream_tbEUlT_E_NS1_11comp_targetILNS1_3genE2ELNS1_11target_archE906ELNS1_3gpuE6ELNS1_3repE0EEENS1_30default_config_static_selectorELNS0_4arch9wavefront6targetE0EEEvT1_
	.p2align	8
	.type	_ZN7rocprim17ROCPRIM_400000_NS6detail17trampoline_kernelINS0_14default_configENS1_25transform_config_selectorImLb1EEEZNS1_14transform_implILb1ES3_S5_PmPlNS0_8identityIvEEEE10hipError_tT2_T3_mT4_P12ihipStream_tbEUlT_E_NS1_11comp_targetILNS1_3genE2ELNS1_11target_archE906ELNS1_3gpuE6ELNS1_3repE0EEENS1_30default_config_static_selectorELNS0_4arch9wavefront6targetE0EEEvT1_,@function
_ZN7rocprim17ROCPRIM_400000_NS6detail17trampoline_kernelINS0_14default_configENS1_25transform_config_selectorImLb1EEEZNS1_14transform_implILb1ES3_S5_PmPlNS0_8identityIvEEEE10hipError_tT2_T3_mT4_P12ihipStream_tbEUlT_E_NS1_11comp_targetILNS1_3genE2ELNS1_11target_archE906ELNS1_3gpuE6ELNS1_3repE0EEENS1_30default_config_static_selectorELNS0_4arch9wavefront6targetE0EEEvT1_: ; @_ZN7rocprim17ROCPRIM_400000_NS6detail17trampoline_kernelINS0_14default_configENS1_25transform_config_selectorImLb1EEEZNS1_14transform_implILb1ES3_S5_PmPlNS0_8identityIvEEEE10hipError_tT2_T3_mT4_P12ihipStream_tbEUlT_E_NS1_11comp_targetILNS1_3genE2ELNS1_11target_archE906ELNS1_3gpuE6ELNS1_3repE0EEENS1_30default_config_static_selectorELNS0_4arch9wavefront6targetE0EEEvT1_
; %bb.0:
	.section	.rodata,"a",@progbits
	.p2align	6, 0x0
	.amdhsa_kernel _ZN7rocprim17ROCPRIM_400000_NS6detail17trampoline_kernelINS0_14default_configENS1_25transform_config_selectorImLb1EEEZNS1_14transform_implILb1ES3_S5_PmPlNS0_8identityIvEEEE10hipError_tT2_T3_mT4_P12ihipStream_tbEUlT_E_NS1_11comp_targetILNS1_3genE2ELNS1_11target_archE906ELNS1_3gpuE6ELNS1_3repE0EEENS1_30default_config_static_selectorELNS0_4arch9wavefront6targetE0EEEvT1_
		.amdhsa_group_segment_fixed_size 0
		.amdhsa_private_segment_fixed_size 0
		.amdhsa_kernarg_size 40
		.amdhsa_user_sgpr_count 2
		.amdhsa_user_sgpr_dispatch_ptr 0
		.amdhsa_user_sgpr_queue_ptr 0
		.amdhsa_user_sgpr_kernarg_segment_ptr 1
		.amdhsa_user_sgpr_dispatch_id 0
		.amdhsa_user_sgpr_private_segment_size 0
		.amdhsa_wavefront_size32 1
		.amdhsa_uses_dynamic_stack 0
		.amdhsa_enable_private_segment 0
		.amdhsa_system_sgpr_workgroup_id_x 1
		.amdhsa_system_sgpr_workgroup_id_y 0
		.amdhsa_system_sgpr_workgroup_id_z 0
		.amdhsa_system_sgpr_workgroup_info 0
		.amdhsa_system_vgpr_workitem_id 0
		.amdhsa_next_free_vgpr 1
		.amdhsa_next_free_sgpr 1
		.amdhsa_reserve_vcc 0
		.amdhsa_float_round_mode_32 0
		.amdhsa_float_round_mode_16_64 0
		.amdhsa_float_denorm_mode_32 3
		.amdhsa_float_denorm_mode_16_64 3
		.amdhsa_fp16_overflow 0
		.amdhsa_workgroup_processor_mode 1
		.amdhsa_memory_ordered 1
		.amdhsa_forward_progress 1
		.amdhsa_inst_pref_size 0
		.amdhsa_round_robin_scheduling 0
		.amdhsa_exception_fp_ieee_invalid_op 0
		.amdhsa_exception_fp_denorm_src 0
		.amdhsa_exception_fp_ieee_div_zero 0
		.amdhsa_exception_fp_ieee_overflow 0
		.amdhsa_exception_fp_ieee_underflow 0
		.amdhsa_exception_fp_ieee_inexact 0
		.amdhsa_exception_int_div_zero 0
	.end_amdhsa_kernel
	.section	.text._ZN7rocprim17ROCPRIM_400000_NS6detail17trampoline_kernelINS0_14default_configENS1_25transform_config_selectorImLb1EEEZNS1_14transform_implILb1ES3_S5_PmPlNS0_8identityIvEEEE10hipError_tT2_T3_mT4_P12ihipStream_tbEUlT_E_NS1_11comp_targetILNS1_3genE2ELNS1_11target_archE906ELNS1_3gpuE6ELNS1_3repE0EEENS1_30default_config_static_selectorELNS0_4arch9wavefront6targetE0EEEvT1_,"axG",@progbits,_ZN7rocprim17ROCPRIM_400000_NS6detail17trampoline_kernelINS0_14default_configENS1_25transform_config_selectorImLb1EEEZNS1_14transform_implILb1ES3_S5_PmPlNS0_8identityIvEEEE10hipError_tT2_T3_mT4_P12ihipStream_tbEUlT_E_NS1_11comp_targetILNS1_3genE2ELNS1_11target_archE906ELNS1_3gpuE6ELNS1_3repE0EEENS1_30default_config_static_selectorELNS0_4arch9wavefront6targetE0EEEvT1_,comdat
.Lfunc_end15:
	.size	_ZN7rocprim17ROCPRIM_400000_NS6detail17trampoline_kernelINS0_14default_configENS1_25transform_config_selectorImLb1EEEZNS1_14transform_implILb1ES3_S5_PmPlNS0_8identityIvEEEE10hipError_tT2_T3_mT4_P12ihipStream_tbEUlT_E_NS1_11comp_targetILNS1_3genE2ELNS1_11target_archE906ELNS1_3gpuE6ELNS1_3repE0EEENS1_30default_config_static_selectorELNS0_4arch9wavefront6targetE0EEEvT1_, .Lfunc_end15-_ZN7rocprim17ROCPRIM_400000_NS6detail17trampoline_kernelINS0_14default_configENS1_25transform_config_selectorImLb1EEEZNS1_14transform_implILb1ES3_S5_PmPlNS0_8identityIvEEEE10hipError_tT2_T3_mT4_P12ihipStream_tbEUlT_E_NS1_11comp_targetILNS1_3genE2ELNS1_11target_archE906ELNS1_3gpuE6ELNS1_3repE0EEENS1_30default_config_static_selectorELNS0_4arch9wavefront6targetE0EEEvT1_
                                        ; -- End function
	.set _ZN7rocprim17ROCPRIM_400000_NS6detail17trampoline_kernelINS0_14default_configENS1_25transform_config_selectorImLb1EEEZNS1_14transform_implILb1ES3_S5_PmPlNS0_8identityIvEEEE10hipError_tT2_T3_mT4_P12ihipStream_tbEUlT_E_NS1_11comp_targetILNS1_3genE2ELNS1_11target_archE906ELNS1_3gpuE6ELNS1_3repE0EEENS1_30default_config_static_selectorELNS0_4arch9wavefront6targetE0EEEvT1_.num_vgpr, 0
	.set _ZN7rocprim17ROCPRIM_400000_NS6detail17trampoline_kernelINS0_14default_configENS1_25transform_config_selectorImLb1EEEZNS1_14transform_implILb1ES3_S5_PmPlNS0_8identityIvEEEE10hipError_tT2_T3_mT4_P12ihipStream_tbEUlT_E_NS1_11comp_targetILNS1_3genE2ELNS1_11target_archE906ELNS1_3gpuE6ELNS1_3repE0EEENS1_30default_config_static_selectorELNS0_4arch9wavefront6targetE0EEEvT1_.num_agpr, 0
	.set _ZN7rocprim17ROCPRIM_400000_NS6detail17trampoline_kernelINS0_14default_configENS1_25transform_config_selectorImLb1EEEZNS1_14transform_implILb1ES3_S5_PmPlNS0_8identityIvEEEE10hipError_tT2_T3_mT4_P12ihipStream_tbEUlT_E_NS1_11comp_targetILNS1_3genE2ELNS1_11target_archE906ELNS1_3gpuE6ELNS1_3repE0EEENS1_30default_config_static_selectorELNS0_4arch9wavefront6targetE0EEEvT1_.numbered_sgpr, 0
	.set _ZN7rocprim17ROCPRIM_400000_NS6detail17trampoline_kernelINS0_14default_configENS1_25transform_config_selectorImLb1EEEZNS1_14transform_implILb1ES3_S5_PmPlNS0_8identityIvEEEE10hipError_tT2_T3_mT4_P12ihipStream_tbEUlT_E_NS1_11comp_targetILNS1_3genE2ELNS1_11target_archE906ELNS1_3gpuE6ELNS1_3repE0EEENS1_30default_config_static_selectorELNS0_4arch9wavefront6targetE0EEEvT1_.num_named_barrier, 0
	.set _ZN7rocprim17ROCPRIM_400000_NS6detail17trampoline_kernelINS0_14default_configENS1_25transform_config_selectorImLb1EEEZNS1_14transform_implILb1ES3_S5_PmPlNS0_8identityIvEEEE10hipError_tT2_T3_mT4_P12ihipStream_tbEUlT_E_NS1_11comp_targetILNS1_3genE2ELNS1_11target_archE906ELNS1_3gpuE6ELNS1_3repE0EEENS1_30default_config_static_selectorELNS0_4arch9wavefront6targetE0EEEvT1_.private_seg_size, 0
	.set _ZN7rocprim17ROCPRIM_400000_NS6detail17trampoline_kernelINS0_14default_configENS1_25transform_config_selectorImLb1EEEZNS1_14transform_implILb1ES3_S5_PmPlNS0_8identityIvEEEE10hipError_tT2_T3_mT4_P12ihipStream_tbEUlT_E_NS1_11comp_targetILNS1_3genE2ELNS1_11target_archE906ELNS1_3gpuE6ELNS1_3repE0EEENS1_30default_config_static_selectorELNS0_4arch9wavefront6targetE0EEEvT1_.uses_vcc, 0
	.set _ZN7rocprim17ROCPRIM_400000_NS6detail17trampoline_kernelINS0_14default_configENS1_25transform_config_selectorImLb1EEEZNS1_14transform_implILb1ES3_S5_PmPlNS0_8identityIvEEEE10hipError_tT2_T3_mT4_P12ihipStream_tbEUlT_E_NS1_11comp_targetILNS1_3genE2ELNS1_11target_archE906ELNS1_3gpuE6ELNS1_3repE0EEENS1_30default_config_static_selectorELNS0_4arch9wavefront6targetE0EEEvT1_.uses_flat_scratch, 0
	.set _ZN7rocprim17ROCPRIM_400000_NS6detail17trampoline_kernelINS0_14default_configENS1_25transform_config_selectorImLb1EEEZNS1_14transform_implILb1ES3_S5_PmPlNS0_8identityIvEEEE10hipError_tT2_T3_mT4_P12ihipStream_tbEUlT_E_NS1_11comp_targetILNS1_3genE2ELNS1_11target_archE906ELNS1_3gpuE6ELNS1_3repE0EEENS1_30default_config_static_selectorELNS0_4arch9wavefront6targetE0EEEvT1_.has_dyn_sized_stack, 0
	.set _ZN7rocprim17ROCPRIM_400000_NS6detail17trampoline_kernelINS0_14default_configENS1_25transform_config_selectorImLb1EEEZNS1_14transform_implILb1ES3_S5_PmPlNS0_8identityIvEEEE10hipError_tT2_T3_mT4_P12ihipStream_tbEUlT_E_NS1_11comp_targetILNS1_3genE2ELNS1_11target_archE906ELNS1_3gpuE6ELNS1_3repE0EEENS1_30default_config_static_selectorELNS0_4arch9wavefront6targetE0EEEvT1_.has_recursion, 0
	.set _ZN7rocprim17ROCPRIM_400000_NS6detail17trampoline_kernelINS0_14default_configENS1_25transform_config_selectorImLb1EEEZNS1_14transform_implILb1ES3_S5_PmPlNS0_8identityIvEEEE10hipError_tT2_T3_mT4_P12ihipStream_tbEUlT_E_NS1_11comp_targetILNS1_3genE2ELNS1_11target_archE906ELNS1_3gpuE6ELNS1_3repE0EEENS1_30default_config_static_selectorELNS0_4arch9wavefront6targetE0EEEvT1_.has_indirect_call, 0
	.section	.AMDGPU.csdata,"",@progbits
; Kernel info:
; codeLenInByte = 0
; TotalNumSgprs: 0
; NumVgprs: 0
; ScratchSize: 0
; MemoryBound: 0
; FloatMode: 240
; IeeeMode: 1
; LDSByteSize: 0 bytes/workgroup (compile time only)
; SGPRBlocks: 0
; VGPRBlocks: 0
; NumSGPRsForWavesPerEU: 1
; NumVGPRsForWavesPerEU: 1
; Occupancy: 16
; WaveLimiterHint : 0
; COMPUTE_PGM_RSRC2:SCRATCH_EN: 0
; COMPUTE_PGM_RSRC2:USER_SGPR: 2
; COMPUTE_PGM_RSRC2:TRAP_HANDLER: 0
; COMPUTE_PGM_RSRC2:TGID_X_EN: 1
; COMPUTE_PGM_RSRC2:TGID_Y_EN: 0
; COMPUTE_PGM_RSRC2:TGID_Z_EN: 0
; COMPUTE_PGM_RSRC2:TIDIG_COMP_CNT: 0
	.section	.text._ZN7rocprim17ROCPRIM_400000_NS6detail17trampoline_kernelINS0_14default_configENS1_25transform_config_selectorImLb1EEEZNS1_14transform_implILb1ES3_S5_PmPlNS0_8identityIvEEEE10hipError_tT2_T3_mT4_P12ihipStream_tbEUlT_E_NS1_11comp_targetILNS1_3genE9ELNS1_11target_archE1100ELNS1_3gpuE3ELNS1_3repE0EEENS1_30default_config_static_selectorELNS0_4arch9wavefront6targetE0EEEvT1_,"axG",@progbits,_ZN7rocprim17ROCPRIM_400000_NS6detail17trampoline_kernelINS0_14default_configENS1_25transform_config_selectorImLb1EEEZNS1_14transform_implILb1ES3_S5_PmPlNS0_8identityIvEEEE10hipError_tT2_T3_mT4_P12ihipStream_tbEUlT_E_NS1_11comp_targetILNS1_3genE9ELNS1_11target_archE1100ELNS1_3gpuE3ELNS1_3repE0EEENS1_30default_config_static_selectorELNS0_4arch9wavefront6targetE0EEEvT1_,comdat
	.protected	_ZN7rocprim17ROCPRIM_400000_NS6detail17trampoline_kernelINS0_14default_configENS1_25transform_config_selectorImLb1EEEZNS1_14transform_implILb1ES3_S5_PmPlNS0_8identityIvEEEE10hipError_tT2_T3_mT4_P12ihipStream_tbEUlT_E_NS1_11comp_targetILNS1_3genE9ELNS1_11target_archE1100ELNS1_3gpuE3ELNS1_3repE0EEENS1_30default_config_static_selectorELNS0_4arch9wavefront6targetE0EEEvT1_ ; -- Begin function _ZN7rocprim17ROCPRIM_400000_NS6detail17trampoline_kernelINS0_14default_configENS1_25transform_config_selectorImLb1EEEZNS1_14transform_implILb1ES3_S5_PmPlNS0_8identityIvEEEE10hipError_tT2_T3_mT4_P12ihipStream_tbEUlT_E_NS1_11comp_targetILNS1_3genE9ELNS1_11target_archE1100ELNS1_3gpuE3ELNS1_3repE0EEENS1_30default_config_static_selectorELNS0_4arch9wavefront6targetE0EEEvT1_
	.globl	_ZN7rocprim17ROCPRIM_400000_NS6detail17trampoline_kernelINS0_14default_configENS1_25transform_config_selectorImLb1EEEZNS1_14transform_implILb1ES3_S5_PmPlNS0_8identityIvEEEE10hipError_tT2_T3_mT4_P12ihipStream_tbEUlT_E_NS1_11comp_targetILNS1_3genE9ELNS1_11target_archE1100ELNS1_3gpuE3ELNS1_3repE0EEENS1_30default_config_static_selectorELNS0_4arch9wavefront6targetE0EEEvT1_
	.p2align	8
	.type	_ZN7rocprim17ROCPRIM_400000_NS6detail17trampoline_kernelINS0_14default_configENS1_25transform_config_selectorImLb1EEEZNS1_14transform_implILb1ES3_S5_PmPlNS0_8identityIvEEEE10hipError_tT2_T3_mT4_P12ihipStream_tbEUlT_E_NS1_11comp_targetILNS1_3genE9ELNS1_11target_archE1100ELNS1_3gpuE3ELNS1_3repE0EEENS1_30default_config_static_selectorELNS0_4arch9wavefront6targetE0EEEvT1_,@function
_ZN7rocprim17ROCPRIM_400000_NS6detail17trampoline_kernelINS0_14default_configENS1_25transform_config_selectorImLb1EEEZNS1_14transform_implILb1ES3_S5_PmPlNS0_8identityIvEEEE10hipError_tT2_T3_mT4_P12ihipStream_tbEUlT_E_NS1_11comp_targetILNS1_3genE9ELNS1_11target_archE1100ELNS1_3gpuE3ELNS1_3repE0EEENS1_30default_config_static_selectorELNS0_4arch9wavefront6targetE0EEEvT1_: ; @_ZN7rocprim17ROCPRIM_400000_NS6detail17trampoline_kernelINS0_14default_configENS1_25transform_config_selectorImLb1EEEZNS1_14transform_implILb1ES3_S5_PmPlNS0_8identityIvEEEE10hipError_tT2_T3_mT4_P12ihipStream_tbEUlT_E_NS1_11comp_targetILNS1_3genE9ELNS1_11target_archE1100ELNS1_3gpuE3ELNS1_3repE0EEENS1_30default_config_static_selectorELNS0_4arch9wavefront6targetE0EEEvT1_
; %bb.0:
	.section	.rodata,"a",@progbits
	.p2align	6, 0x0
	.amdhsa_kernel _ZN7rocprim17ROCPRIM_400000_NS6detail17trampoline_kernelINS0_14default_configENS1_25transform_config_selectorImLb1EEEZNS1_14transform_implILb1ES3_S5_PmPlNS0_8identityIvEEEE10hipError_tT2_T3_mT4_P12ihipStream_tbEUlT_E_NS1_11comp_targetILNS1_3genE9ELNS1_11target_archE1100ELNS1_3gpuE3ELNS1_3repE0EEENS1_30default_config_static_selectorELNS0_4arch9wavefront6targetE0EEEvT1_
		.amdhsa_group_segment_fixed_size 0
		.amdhsa_private_segment_fixed_size 0
		.amdhsa_kernarg_size 40
		.amdhsa_user_sgpr_count 2
		.amdhsa_user_sgpr_dispatch_ptr 0
		.amdhsa_user_sgpr_queue_ptr 0
		.amdhsa_user_sgpr_kernarg_segment_ptr 1
		.amdhsa_user_sgpr_dispatch_id 0
		.amdhsa_user_sgpr_private_segment_size 0
		.amdhsa_wavefront_size32 1
		.amdhsa_uses_dynamic_stack 0
		.amdhsa_enable_private_segment 0
		.amdhsa_system_sgpr_workgroup_id_x 1
		.amdhsa_system_sgpr_workgroup_id_y 0
		.amdhsa_system_sgpr_workgroup_id_z 0
		.amdhsa_system_sgpr_workgroup_info 0
		.amdhsa_system_vgpr_workitem_id 0
		.amdhsa_next_free_vgpr 1
		.amdhsa_next_free_sgpr 1
		.amdhsa_reserve_vcc 0
		.amdhsa_float_round_mode_32 0
		.amdhsa_float_round_mode_16_64 0
		.amdhsa_float_denorm_mode_32 3
		.amdhsa_float_denorm_mode_16_64 3
		.amdhsa_fp16_overflow 0
		.amdhsa_workgroup_processor_mode 1
		.amdhsa_memory_ordered 1
		.amdhsa_forward_progress 1
		.amdhsa_inst_pref_size 0
		.amdhsa_round_robin_scheduling 0
		.amdhsa_exception_fp_ieee_invalid_op 0
		.amdhsa_exception_fp_denorm_src 0
		.amdhsa_exception_fp_ieee_div_zero 0
		.amdhsa_exception_fp_ieee_overflow 0
		.amdhsa_exception_fp_ieee_underflow 0
		.amdhsa_exception_fp_ieee_inexact 0
		.amdhsa_exception_int_div_zero 0
	.end_amdhsa_kernel
	.section	.text._ZN7rocprim17ROCPRIM_400000_NS6detail17trampoline_kernelINS0_14default_configENS1_25transform_config_selectorImLb1EEEZNS1_14transform_implILb1ES3_S5_PmPlNS0_8identityIvEEEE10hipError_tT2_T3_mT4_P12ihipStream_tbEUlT_E_NS1_11comp_targetILNS1_3genE9ELNS1_11target_archE1100ELNS1_3gpuE3ELNS1_3repE0EEENS1_30default_config_static_selectorELNS0_4arch9wavefront6targetE0EEEvT1_,"axG",@progbits,_ZN7rocprim17ROCPRIM_400000_NS6detail17trampoline_kernelINS0_14default_configENS1_25transform_config_selectorImLb1EEEZNS1_14transform_implILb1ES3_S5_PmPlNS0_8identityIvEEEE10hipError_tT2_T3_mT4_P12ihipStream_tbEUlT_E_NS1_11comp_targetILNS1_3genE9ELNS1_11target_archE1100ELNS1_3gpuE3ELNS1_3repE0EEENS1_30default_config_static_selectorELNS0_4arch9wavefront6targetE0EEEvT1_,comdat
.Lfunc_end16:
	.size	_ZN7rocprim17ROCPRIM_400000_NS6detail17trampoline_kernelINS0_14default_configENS1_25transform_config_selectorImLb1EEEZNS1_14transform_implILb1ES3_S5_PmPlNS0_8identityIvEEEE10hipError_tT2_T3_mT4_P12ihipStream_tbEUlT_E_NS1_11comp_targetILNS1_3genE9ELNS1_11target_archE1100ELNS1_3gpuE3ELNS1_3repE0EEENS1_30default_config_static_selectorELNS0_4arch9wavefront6targetE0EEEvT1_, .Lfunc_end16-_ZN7rocprim17ROCPRIM_400000_NS6detail17trampoline_kernelINS0_14default_configENS1_25transform_config_selectorImLb1EEEZNS1_14transform_implILb1ES3_S5_PmPlNS0_8identityIvEEEE10hipError_tT2_T3_mT4_P12ihipStream_tbEUlT_E_NS1_11comp_targetILNS1_3genE9ELNS1_11target_archE1100ELNS1_3gpuE3ELNS1_3repE0EEENS1_30default_config_static_selectorELNS0_4arch9wavefront6targetE0EEEvT1_
                                        ; -- End function
	.set _ZN7rocprim17ROCPRIM_400000_NS6detail17trampoline_kernelINS0_14default_configENS1_25transform_config_selectorImLb1EEEZNS1_14transform_implILb1ES3_S5_PmPlNS0_8identityIvEEEE10hipError_tT2_T3_mT4_P12ihipStream_tbEUlT_E_NS1_11comp_targetILNS1_3genE9ELNS1_11target_archE1100ELNS1_3gpuE3ELNS1_3repE0EEENS1_30default_config_static_selectorELNS0_4arch9wavefront6targetE0EEEvT1_.num_vgpr, 0
	.set _ZN7rocprim17ROCPRIM_400000_NS6detail17trampoline_kernelINS0_14default_configENS1_25transform_config_selectorImLb1EEEZNS1_14transform_implILb1ES3_S5_PmPlNS0_8identityIvEEEE10hipError_tT2_T3_mT4_P12ihipStream_tbEUlT_E_NS1_11comp_targetILNS1_3genE9ELNS1_11target_archE1100ELNS1_3gpuE3ELNS1_3repE0EEENS1_30default_config_static_selectorELNS0_4arch9wavefront6targetE0EEEvT1_.num_agpr, 0
	.set _ZN7rocprim17ROCPRIM_400000_NS6detail17trampoline_kernelINS0_14default_configENS1_25transform_config_selectorImLb1EEEZNS1_14transform_implILb1ES3_S5_PmPlNS0_8identityIvEEEE10hipError_tT2_T3_mT4_P12ihipStream_tbEUlT_E_NS1_11comp_targetILNS1_3genE9ELNS1_11target_archE1100ELNS1_3gpuE3ELNS1_3repE0EEENS1_30default_config_static_selectorELNS0_4arch9wavefront6targetE0EEEvT1_.numbered_sgpr, 0
	.set _ZN7rocprim17ROCPRIM_400000_NS6detail17trampoline_kernelINS0_14default_configENS1_25transform_config_selectorImLb1EEEZNS1_14transform_implILb1ES3_S5_PmPlNS0_8identityIvEEEE10hipError_tT2_T3_mT4_P12ihipStream_tbEUlT_E_NS1_11comp_targetILNS1_3genE9ELNS1_11target_archE1100ELNS1_3gpuE3ELNS1_3repE0EEENS1_30default_config_static_selectorELNS0_4arch9wavefront6targetE0EEEvT1_.num_named_barrier, 0
	.set _ZN7rocprim17ROCPRIM_400000_NS6detail17trampoline_kernelINS0_14default_configENS1_25transform_config_selectorImLb1EEEZNS1_14transform_implILb1ES3_S5_PmPlNS0_8identityIvEEEE10hipError_tT2_T3_mT4_P12ihipStream_tbEUlT_E_NS1_11comp_targetILNS1_3genE9ELNS1_11target_archE1100ELNS1_3gpuE3ELNS1_3repE0EEENS1_30default_config_static_selectorELNS0_4arch9wavefront6targetE0EEEvT1_.private_seg_size, 0
	.set _ZN7rocprim17ROCPRIM_400000_NS6detail17trampoline_kernelINS0_14default_configENS1_25transform_config_selectorImLb1EEEZNS1_14transform_implILb1ES3_S5_PmPlNS0_8identityIvEEEE10hipError_tT2_T3_mT4_P12ihipStream_tbEUlT_E_NS1_11comp_targetILNS1_3genE9ELNS1_11target_archE1100ELNS1_3gpuE3ELNS1_3repE0EEENS1_30default_config_static_selectorELNS0_4arch9wavefront6targetE0EEEvT1_.uses_vcc, 0
	.set _ZN7rocprim17ROCPRIM_400000_NS6detail17trampoline_kernelINS0_14default_configENS1_25transform_config_selectorImLb1EEEZNS1_14transform_implILb1ES3_S5_PmPlNS0_8identityIvEEEE10hipError_tT2_T3_mT4_P12ihipStream_tbEUlT_E_NS1_11comp_targetILNS1_3genE9ELNS1_11target_archE1100ELNS1_3gpuE3ELNS1_3repE0EEENS1_30default_config_static_selectorELNS0_4arch9wavefront6targetE0EEEvT1_.uses_flat_scratch, 0
	.set _ZN7rocprim17ROCPRIM_400000_NS6detail17trampoline_kernelINS0_14default_configENS1_25transform_config_selectorImLb1EEEZNS1_14transform_implILb1ES3_S5_PmPlNS0_8identityIvEEEE10hipError_tT2_T3_mT4_P12ihipStream_tbEUlT_E_NS1_11comp_targetILNS1_3genE9ELNS1_11target_archE1100ELNS1_3gpuE3ELNS1_3repE0EEENS1_30default_config_static_selectorELNS0_4arch9wavefront6targetE0EEEvT1_.has_dyn_sized_stack, 0
	.set _ZN7rocprim17ROCPRIM_400000_NS6detail17trampoline_kernelINS0_14default_configENS1_25transform_config_selectorImLb1EEEZNS1_14transform_implILb1ES3_S5_PmPlNS0_8identityIvEEEE10hipError_tT2_T3_mT4_P12ihipStream_tbEUlT_E_NS1_11comp_targetILNS1_3genE9ELNS1_11target_archE1100ELNS1_3gpuE3ELNS1_3repE0EEENS1_30default_config_static_selectorELNS0_4arch9wavefront6targetE0EEEvT1_.has_recursion, 0
	.set _ZN7rocprim17ROCPRIM_400000_NS6detail17trampoline_kernelINS0_14default_configENS1_25transform_config_selectorImLb1EEEZNS1_14transform_implILb1ES3_S5_PmPlNS0_8identityIvEEEE10hipError_tT2_T3_mT4_P12ihipStream_tbEUlT_E_NS1_11comp_targetILNS1_3genE9ELNS1_11target_archE1100ELNS1_3gpuE3ELNS1_3repE0EEENS1_30default_config_static_selectorELNS0_4arch9wavefront6targetE0EEEvT1_.has_indirect_call, 0
	.section	.AMDGPU.csdata,"",@progbits
; Kernel info:
; codeLenInByte = 0
; TotalNumSgprs: 0
; NumVgprs: 0
; ScratchSize: 0
; MemoryBound: 0
; FloatMode: 240
; IeeeMode: 1
; LDSByteSize: 0 bytes/workgroup (compile time only)
; SGPRBlocks: 0
; VGPRBlocks: 0
; NumSGPRsForWavesPerEU: 1
; NumVGPRsForWavesPerEU: 1
; Occupancy: 16
; WaveLimiterHint : 0
; COMPUTE_PGM_RSRC2:SCRATCH_EN: 0
; COMPUTE_PGM_RSRC2:USER_SGPR: 2
; COMPUTE_PGM_RSRC2:TRAP_HANDLER: 0
; COMPUTE_PGM_RSRC2:TGID_X_EN: 1
; COMPUTE_PGM_RSRC2:TGID_Y_EN: 0
; COMPUTE_PGM_RSRC2:TGID_Z_EN: 0
; COMPUTE_PGM_RSRC2:TIDIG_COMP_CNT: 0
	.section	.text._ZN7rocprim17ROCPRIM_400000_NS6detail17trampoline_kernelINS0_14default_configENS1_25transform_config_selectorImLb1EEEZNS1_14transform_implILb1ES3_S5_PmPlNS0_8identityIvEEEE10hipError_tT2_T3_mT4_P12ihipStream_tbEUlT_E_NS1_11comp_targetILNS1_3genE8ELNS1_11target_archE1030ELNS1_3gpuE2ELNS1_3repE0EEENS1_30default_config_static_selectorELNS0_4arch9wavefront6targetE0EEEvT1_,"axG",@progbits,_ZN7rocprim17ROCPRIM_400000_NS6detail17trampoline_kernelINS0_14default_configENS1_25transform_config_selectorImLb1EEEZNS1_14transform_implILb1ES3_S5_PmPlNS0_8identityIvEEEE10hipError_tT2_T3_mT4_P12ihipStream_tbEUlT_E_NS1_11comp_targetILNS1_3genE8ELNS1_11target_archE1030ELNS1_3gpuE2ELNS1_3repE0EEENS1_30default_config_static_selectorELNS0_4arch9wavefront6targetE0EEEvT1_,comdat
	.protected	_ZN7rocprim17ROCPRIM_400000_NS6detail17trampoline_kernelINS0_14default_configENS1_25transform_config_selectorImLb1EEEZNS1_14transform_implILb1ES3_S5_PmPlNS0_8identityIvEEEE10hipError_tT2_T3_mT4_P12ihipStream_tbEUlT_E_NS1_11comp_targetILNS1_3genE8ELNS1_11target_archE1030ELNS1_3gpuE2ELNS1_3repE0EEENS1_30default_config_static_selectorELNS0_4arch9wavefront6targetE0EEEvT1_ ; -- Begin function _ZN7rocprim17ROCPRIM_400000_NS6detail17trampoline_kernelINS0_14default_configENS1_25transform_config_selectorImLb1EEEZNS1_14transform_implILb1ES3_S5_PmPlNS0_8identityIvEEEE10hipError_tT2_T3_mT4_P12ihipStream_tbEUlT_E_NS1_11comp_targetILNS1_3genE8ELNS1_11target_archE1030ELNS1_3gpuE2ELNS1_3repE0EEENS1_30default_config_static_selectorELNS0_4arch9wavefront6targetE0EEEvT1_
	.globl	_ZN7rocprim17ROCPRIM_400000_NS6detail17trampoline_kernelINS0_14default_configENS1_25transform_config_selectorImLb1EEEZNS1_14transform_implILb1ES3_S5_PmPlNS0_8identityIvEEEE10hipError_tT2_T3_mT4_P12ihipStream_tbEUlT_E_NS1_11comp_targetILNS1_3genE8ELNS1_11target_archE1030ELNS1_3gpuE2ELNS1_3repE0EEENS1_30default_config_static_selectorELNS0_4arch9wavefront6targetE0EEEvT1_
	.p2align	8
	.type	_ZN7rocprim17ROCPRIM_400000_NS6detail17trampoline_kernelINS0_14default_configENS1_25transform_config_selectorImLb1EEEZNS1_14transform_implILb1ES3_S5_PmPlNS0_8identityIvEEEE10hipError_tT2_T3_mT4_P12ihipStream_tbEUlT_E_NS1_11comp_targetILNS1_3genE8ELNS1_11target_archE1030ELNS1_3gpuE2ELNS1_3repE0EEENS1_30default_config_static_selectorELNS0_4arch9wavefront6targetE0EEEvT1_,@function
_ZN7rocprim17ROCPRIM_400000_NS6detail17trampoline_kernelINS0_14default_configENS1_25transform_config_selectorImLb1EEEZNS1_14transform_implILb1ES3_S5_PmPlNS0_8identityIvEEEE10hipError_tT2_T3_mT4_P12ihipStream_tbEUlT_E_NS1_11comp_targetILNS1_3genE8ELNS1_11target_archE1030ELNS1_3gpuE2ELNS1_3repE0EEENS1_30default_config_static_selectorELNS0_4arch9wavefront6targetE0EEEvT1_: ; @_ZN7rocprim17ROCPRIM_400000_NS6detail17trampoline_kernelINS0_14default_configENS1_25transform_config_selectorImLb1EEEZNS1_14transform_implILb1ES3_S5_PmPlNS0_8identityIvEEEE10hipError_tT2_T3_mT4_P12ihipStream_tbEUlT_E_NS1_11comp_targetILNS1_3genE8ELNS1_11target_archE1030ELNS1_3gpuE2ELNS1_3repE0EEENS1_30default_config_static_selectorELNS0_4arch9wavefront6targetE0EEEvT1_
; %bb.0:
	.section	.rodata,"a",@progbits
	.p2align	6, 0x0
	.amdhsa_kernel _ZN7rocprim17ROCPRIM_400000_NS6detail17trampoline_kernelINS0_14default_configENS1_25transform_config_selectorImLb1EEEZNS1_14transform_implILb1ES3_S5_PmPlNS0_8identityIvEEEE10hipError_tT2_T3_mT4_P12ihipStream_tbEUlT_E_NS1_11comp_targetILNS1_3genE8ELNS1_11target_archE1030ELNS1_3gpuE2ELNS1_3repE0EEENS1_30default_config_static_selectorELNS0_4arch9wavefront6targetE0EEEvT1_
		.amdhsa_group_segment_fixed_size 0
		.amdhsa_private_segment_fixed_size 0
		.amdhsa_kernarg_size 40
		.amdhsa_user_sgpr_count 2
		.amdhsa_user_sgpr_dispatch_ptr 0
		.amdhsa_user_sgpr_queue_ptr 0
		.amdhsa_user_sgpr_kernarg_segment_ptr 1
		.amdhsa_user_sgpr_dispatch_id 0
		.amdhsa_user_sgpr_private_segment_size 0
		.amdhsa_wavefront_size32 1
		.amdhsa_uses_dynamic_stack 0
		.amdhsa_enable_private_segment 0
		.amdhsa_system_sgpr_workgroup_id_x 1
		.amdhsa_system_sgpr_workgroup_id_y 0
		.amdhsa_system_sgpr_workgroup_id_z 0
		.amdhsa_system_sgpr_workgroup_info 0
		.amdhsa_system_vgpr_workitem_id 0
		.amdhsa_next_free_vgpr 1
		.amdhsa_next_free_sgpr 1
		.amdhsa_reserve_vcc 0
		.amdhsa_float_round_mode_32 0
		.amdhsa_float_round_mode_16_64 0
		.amdhsa_float_denorm_mode_32 3
		.amdhsa_float_denorm_mode_16_64 3
		.amdhsa_fp16_overflow 0
		.amdhsa_workgroup_processor_mode 1
		.amdhsa_memory_ordered 1
		.amdhsa_forward_progress 1
		.amdhsa_inst_pref_size 0
		.amdhsa_round_robin_scheduling 0
		.amdhsa_exception_fp_ieee_invalid_op 0
		.amdhsa_exception_fp_denorm_src 0
		.amdhsa_exception_fp_ieee_div_zero 0
		.amdhsa_exception_fp_ieee_overflow 0
		.amdhsa_exception_fp_ieee_underflow 0
		.amdhsa_exception_fp_ieee_inexact 0
		.amdhsa_exception_int_div_zero 0
	.end_amdhsa_kernel
	.section	.text._ZN7rocprim17ROCPRIM_400000_NS6detail17trampoline_kernelINS0_14default_configENS1_25transform_config_selectorImLb1EEEZNS1_14transform_implILb1ES3_S5_PmPlNS0_8identityIvEEEE10hipError_tT2_T3_mT4_P12ihipStream_tbEUlT_E_NS1_11comp_targetILNS1_3genE8ELNS1_11target_archE1030ELNS1_3gpuE2ELNS1_3repE0EEENS1_30default_config_static_selectorELNS0_4arch9wavefront6targetE0EEEvT1_,"axG",@progbits,_ZN7rocprim17ROCPRIM_400000_NS6detail17trampoline_kernelINS0_14default_configENS1_25transform_config_selectorImLb1EEEZNS1_14transform_implILb1ES3_S5_PmPlNS0_8identityIvEEEE10hipError_tT2_T3_mT4_P12ihipStream_tbEUlT_E_NS1_11comp_targetILNS1_3genE8ELNS1_11target_archE1030ELNS1_3gpuE2ELNS1_3repE0EEENS1_30default_config_static_selectorELNS0_4arch9wavefront6targetE0EEEvT1_,comdat
.Lfunc_end17:
	.size	_ZN7rocprim17ROCPRIM_400000_NS6detail17trampoline_kernelINS0_14default_configENS1_25transform_config_selectorImLb1EEEZNS1_14transform_implILb1ES3_S5_PmPlNS0_8identityIvEEEE10hipError_tT2_T3_mT4_P12ihipStream_tbEUlT_E_NS1_11comp_targetILNS1_3genE8ELNS1_11target_archE1030ELNS1_3gpuE2ELNS1_3repE0EEENS1_30default_config_static_selectorELNS0_4arch9wavefront6targetE0EEEvT1_, .Lfunc_end17-_ZN7rocprim17ROCPRIM_400000_NS6detail17trampoline_kernelINS0_14default_configENS1_25transform_config_selectorImLb1EEEZNS1_14transform_implILb1ES3_S5_PmPlNS0_8identityIvEEEE10hipError_tT2_T3_mT4_P12ihipStream_tbEUlT_E_NS1_11comp_targetILNS1_3genE8ELNS1_11target_archE1030ELNS1_3gpuE2ELNS1_3repE0EEENS1_30default_config_static_selectorELNS0_4arch9wavefront6targetE0EEEvT1_
                                        ; -- End function
	.set _ZN7rocprim17ROCPRIM_400000_NS6detail17trampoline_kernelINS0_14default_configENS1_25transform_config_selectorImLb1EEEZNS1_14transform_implILb1ES3_S5_PmPlNS0_8identityIvEEEE10hipError_tT2_T3_mT4_P12ihipStream_tbEUlT_E_NS1_11comp_targetILNS1_3genE8ELNS1_11target_archE1030ELNS1_3gpuE2ELNS1_3repE0EEENS1_30default_config_static_selectorELNS0_4arch9wavefront6targetE0EEEvT1_.num_vgpr, 0
	.set _ZN7rocprim17ROCPRIM_400000_NS6detail17trampoline_kernelINS0_14default_configENS1_25transform_config_selectorImLb1EEEZNS1_14transform_implILb1ES3_S5_PmPlNS0_8identityIvEEEE10hipError_tT2_T3_mT4_P12ihipStream_tbEUlT_E_NS1_11comp_targetILNS1_3genE8ELNS1_11target_archE1030ELNS1_3gpuE2ELNS1_3repE0EEENS1_30default_config_static_selectorELNS0_4arch9wavefront6targetE0EEEvT1_.num_agpr, 0
	.set _ZN7rocprim17ROCPRIM_400000_NS6detail17trampoline_kernelINS0_14default_configENS1_25transform_config_selectorImLb1EEEZNS1_14transform_implILb1ES3_S5_PmPlNS0_8identityIvEEEE10hipError_tT2_T3_mT4_P12ihipStream_tbEUlT_E_NS1_11comp_targetILNS1_3genE8ELNS1_11target_archE1030ELNS1_3gpuE2ELNS1_3repE0EEENS1_30default_config_static_selectorELNS0_4arch9wavefront6targetE0EEEvT1_.numbered_sgpr, 0
	.set _ZN7rocprim17ROCPRIM_400000_NS6detail17trampoline_kernelINS0_14default_configENS1_25transform_config_selectorImLb1EEEZNS1_14transform_implILb1ES3_S5_PmPlNS0_8identityIvEEEE10hipError_tT2_T3_mT4_P12ihipStream_tbEUlT_E_NS1_11comp_targetILNS1_3genE8ELNS1_11target_archE1030ELNS1_3gpuE2ELNS1_3repE0EEENS1_30default_config_static_selectorELNS0_4arch9wavefront6targetE0EEEvT1_.num_named_barrier, 0
	.set _ZN7rocprim17ROCPRIM_400000_NS6detail17trampoline_kernelINS0_14default_configENS1_25transform_config_selectorImLb1EEEZNS1_14transform_implILb1ES3_S5_PmPlNS0_8identityIvEEEE10hipError_tT2_T3_mT4_P12ihipStream_tbEUlT_E_NS1_11comp_targetILNS1_3genE8ELNS1_11target_archE1030ELNS1_3gpuE2ELNS1_3repE0EEENS1_30default_config_static_selectorELNS0_4arch9wavefront6targetE0EEEvT1_.private_seg_size, 0
	.set _ZN7rocprim17ROCPRIM_400000_NS6detail17trampoline_kernelINS0_14default_configENS1_25transform_config_selectorImLb1EEEZNS1_14transform_implILb1ES3_S5_PmPlNS0_8identityIvEEEE10hipError_tT2_T3_mT4_P12ihipStream_tbEUlT_E_NS1_11comp_targetILNS1_3genE8ELNS1_11target_archE1030ELNS1_3gpuE2ELNS1_3repE0EEENS1_30default_config_static_selectorELNS0_4arch9wavefront6targetE0EEEvT1_.uses_vcc, 0
	.set _ZN7rocprim17ROCPRIM_400000_NS6detail17trampoline_kernelINS0_14default_configENS1_25transform_config_selectorImLb1EEEZNS1_14transform_implILb1ES3_S5_PmPlNS0_8identityIvEEEE10hipError_tT2_T3_mT4_P12ihipStream_tbEUlT_E_NS1_11comp_targetILNS1_3genE8ELNS1_11target_archE1030ELNS1_3gpuE2ELNS1_3repE0EEENS1_30default_config_static_selectorELNS0_4arch9wavefront6targetE0EEEvT1_.uses_flat_scratch, 0
	.set _ZN7rocprim17ROCPRIM_400000_NS6detail17trampoline_kernelINS0_14default_configENS1_25transform_config_selectorImLb1EEEZNS1_14transform_implILb1ES3_S5_PmPlNS0_8identityIvEEEE10hipError_tT2_T3_mT4_P12ihipStream_tbEUlT_E_NS1_11comp_targetILNS1_3genE8ELNS1_11target_archE1030ELNS1_3gpuE2ELNS1_3repE0EEENS1_30default_config_static_selectorELNS0_4arch9wavefront6targetE0EEEvT1_.has_dyn_sized_stack, 0
	.set _ZN7rocprim17ROCPRIM_400000_NS6detail17trampoline_kernelINS0_14default_configENS1_25transform_config_selectorImLb1EEEZNS1_14transform_implILb1ES3_S5_PmPlNS0_8identityIvEEEE10hipError_tT2_T3_mT4_P12ihipStream_tbEUlT_E_NS1_11comp_targetILNS1_3genE8ELNS1_11target_archE1030ELNS1_3gpuE2ELNS1_3repE0EEENS1_30default_config_static_selectorELNS0_4arch9wavefront6targetE0EEEvT1_.has_recursion, 0
	.set _ZN7rocprim17ROCPRIM_400000_NS6detail17trampoline_kernelINS0_14default_configENS1_25transform_config_selectorImLb1EEEZNS1_14transform_implILb1ES3_S5_PmPlNS0_8identityIvEEEE10hipError_tT2_T3_mT4_P12ihipStream_tbEUlT_E_NS1_11comp_targetILNS1_3genE8ELNS1_11target_archE1030ELNS1_3gpuE2ELNS1_3repE0EEENS1_30default_config_static_selectorELNS0_4arch9wavefront6targetE0EEEvT1_.has_indirect_call, 0
	.section	.AMDGPU.csdata,"",@progbits
; Kernel info:
; codeLenInByte = 0
; TotalNumSgprs: 0
; NumVgprs: 0
; ScratchSize: 0
; MemoryBound: 0
; FloatMode: 240
; IeeeMode: 1
; LDSByteSize: 0 bytes/workgroup (compile time only)
; SGPRBlocks: 0
; VGPRBlocks: 0
; NumSGPRsForWavesPerEU: 1
; NumVGPRsForWavesPerEU: 1
; Occupancy: 16
; WaveLimiterHint : 0
; COMPUTE_PGM_RSRC2:SCRATCH_EN: 0
; COMPUTE_PGM_RSRC2:USER_SGPR: 2
; COMPUTE_PGM_RSRC2:TRAP_HANDLER: 0
; COMPUTE_PGM_RSRC2:TGID_X_EN: 1
; COMPUTE_PGM_RSRC2:TGID_Y_EN: 0
; COMPUTE_PGM_RSRC2:TGID_Z_EN: 0
; COMPUTE_PGM_RSRC2:TIDIG_COMP_CNT: 0
	.section	.text._ZN7rocprim17ROCPRIM_400000_NS6detail31init_lookback_scan_state_kernelINS1_19lookback_scan_stateImLb1ELb1EEENS1_16block_id_wrapperIjLb1EEEEEvT_jT0_jPNS7_10value_typeE,"axG",@progbits,_ZN7rocprim17ROCPRIM_400000_NS6detail31init_lookback_scan_state_kernelINS1_19lookback_scan_stateImLb1ELb1EEENS1_16block_id_wrapperIjLb1EEEEEvT_jT0_jPNS7_10value_typeE,comdat
	.protected	_ZN7rocprim17ROCPRIM_400000_NS6detail31init_lookback_scan_state_kernelINS1_19lookback_scan_stateImLb1ELb1EEENS1_16block_id_wrapperIjLb1EEEEEvT_jT0_jPNS7_10value_typeE ; -- Begin function _ZN7rocprim17ROCPRIM_400000_NS6detail31init_lookback_scan_state_kernelINS1_19lookback_scan_stateImLb1ELb1EEENS1_16block_id_wrapperIjLb1EEEEEvT_jT0_jPNS7_10value_typeE
	.globl	_ZN7rocprim17ROCPRIM_400000_NS6detail31init_lookback_scan_state_kernelINS1_19lookback_scan_stateImLb1ELb1EEENS1_16block_id_wrapperIjLb1EEEEEvT_jT0_jPNS7_10value_typeE
	.p2align	8
	.type	_ZN7rocprim17ROCPRIM_400000_NS6detail31init_lookback_scan_state_kernelINS1_19lookback_scan_stateImLb1ELb1EEENS1_16block_id_wrapperIjLb1EEEEEvT_jT0_jPNS7_10value_typeE,@function
_ZN7rocprim17ROCPRIM_400000_NS6detail31init_lookback_scan_state_kernelINS1_19lookback_scan_stateImLb1ELb1EEENS1_16block_id_wrapperIjLb1EEEEEvT_jT0_jPNS7_10value_typeE: ; @_ZN7rocprim17ROCPRIM_400000_NS6detail31init_lookback_scan_state_kernelINS1_19lookback_scan_stateImLb1ELb1EEENS1_16block_id_wrapperIjLb1EEEEEvT_jT0_jPNS7_10value_typeE
; %bb.0:
	s_clause 0x2
	s_load_b32 s7, s[0:1], 0x34
	s_load_b64 s[2:3], s[0:1], 0x20
	s_load_b96 s[4:6], s[0:1], 0x0
	s_wait_kmcnt 0x0
	s_and_b32 s7, s7, 0xffff
	s_cmp_eq_u64 s[2:3], 0
	v_mad_co_u64_u32 v[0:1], null, ttmp9, s7, v[0:1]
	s_cbranch_scc1 .LBB18_10
; %bb.1:
	s_load_b32 s8, s[0:1], 0x18
	s_mov_b32 s9, 0
	s_wait_kmcnt 0x0
	s_cmp_lt_u32 s8, s6
	s_cselect_b32 s7, s8, 0
	s_wait_alu 0xfffe
	v_cmp_eq_u32_e32 vcc_lo, s7, v0
	s_and_saveexec_b32 s7, vcc_lo
	s_cbranch_execz .LBB18_9
; %bb.2:
	s_add_co_i32 s8, s8, 32
	s_mov_b32 s10, exec_lo
	s_lshl_b64 s[8:9], s[8:9], 4
	v_mov_b32_e32 v5, 0
	s_add_nc_u64 s[8:9], s[4:5], s[8:9]
	s_delay_alu instid0(SALU_CYCLE_1) | instskip(SKIP_2) | instid1(VALU_DEP_1)
	v_dual_mov_b32 v1, s8 :: v_dual_mov_b32 v2, s9
	;;#ASMSTART
	global_load_b128 v[1:4], v[1:2] off scope:SCOPE_DEV	
s_wait_loadcnt 0x0
	;;#ASMEND
	v_and_b32_e32 v4, 0xff, v3
	v_cmpx_eq_u64_e32 0, v[4:5]
	s_cbranch_execz .LBB18_8
; %bb.3:
	v_dual_mov_b32 v6, s8 :: v_dual_mov_b32 v7, s9
	s_mov_b32 s9, 1
	s_mov_b32 s8, 0
.LBB18_4:                               ; =>This Loop Header: Depth=1
                                        ;     Child Loop BB18_5 Depth 2
	s_wait_alu 0xfffe
	s_mov_b32 s11, s9
.LBB18_5:                               ;   Parent Loop BB18_4 Depth=1
                                        ; =>  This Inner Loop Header: Depth=2
	s_delay_alu instid0(SALU_CYCLE_1)
	s_add_co_i32 s11, s11, -1
	s_sleep 1
	s_cmp_eq_u32 s11, 0
	s_cbranch_scc0 .LBB18_5
; %bb.6:                                ;   in Loop: Header=BB18_4 Depth=1
	;;#ASMSTART
	global_load_b128 v[1:4], v[6:7] off scope:SCOPE_DEV	
s_wait_loadcnt 0x0
	;;#ASMEND
	v_and_b32_e32 v4, 0xff, v3
	s_cmp_lt_u32 s9, 32
	s_cselect_b32 s11, -1, 0
	s_delay_alu instid0(SALU_CYCLE_1) | instskip(NEXT) | instid1(VALU_DEP_1)
	s_cmp_lg_u32 s11, 0
	v_cmp_ne_u64_e32 vcc_lo, 0, v[4:5]
	s_add_co_ci_u32 s9, s9, 0
	s_or_b32 s8, vcc_lo, s8
	s_wait_alu 0xfffe
	s_and_not1_b32 exec_lo, exec_lo, s8
	s_cbranch_execnz .LBB18_4
; %bb.7:
	s_or_b32 exec_lo, exec_lo, s8
.LBB18_8:
	s_delay_alu instid0(SALU_CYCLE_1)
	s_or_b32 exec_lo, exec_lo, s10
	v_mov_b32_e32 v3, 0
	global_store_b64 v3, v[1:2], s[2:3]
.LBB18_9:
	s_wait_alu 0xfffe
	s_or_b32 exec_lo, exec_lo, s7
.LBB18_10:
	s_delay_alu instid0(SALU_CYCLE_1)
	s_mov_b32 s2, exec_lo
	v_cmpx_eq_u32_e32 0, v0
	s_cbranch_execz .LBB18_12
; %bb.11:
	s_load_b64 s[0:1], s[0:1], 0x10
	v_mov_b32_e32 v1, 0
	s_wait_kmcnt 0x0
	global_store_b32 v1, v1, s[0:1]
.LBB18_12:
	s_or_b32 exec_lo, exec_lo, s2
	s_delay_alu instid0(SALU_CYCLE_1)
	s_mov_b32 s0, exec_lo
	v_cmpx_gt_u32_e64 s6, v0
	s_cbranch_execz .LBB18_14
; %bb.13:
	v_dual_mov_b32 v2, 0 :: v_dual_add_nc_u32 v1, 32, v0
	s_delay_alu instid0(VALU_DEP_1) | instskip(SKIP_2) | instid1(VALU_DEP_3)
	v_lshlrev_b64_e32 v[4:5], 4, v[1:2]
	v_mov_b32_e32 v1, v2
	v_mov_b32_e32 v3, v2
	v_add_co_u32 v6, vcc_lo, s4, v4
	s_delay_alu instid0(VALU_DEP_1)
	v_add_co_ci_u32_e64 v7, null, s5, v5, vcc_lo
	v_mov_b32_e32 v4, v2
	global_store_b128 v[6:7], v[1:4], off
.LBB18_14:
	s_wait_alu 0xfffe
	s_or_b32 exec_lo, exec_lo, s0
	s_delay_alu instid0(SALU_CYCLE_1)
	s_mov_b32 s0, exec_lo
	v_cmpx_gt_u32_e32 32, v0
	s_cbranch_execz .LBB18_16
; %bb.15:
	v_dual_mov_b32 v1, 0 :: v_dual_mov_b32 v2, 0xff
	s_delay_alu instid0(VALU_DEP_1) | instskip(SKIP_1) | instid1(VALU_DEP_2)
	v_lshlrev_b64_e32 v[3:4], 4, v[0:1]
	v_mov_b32_e32 v0, v1
	v_add_co_u32 v5, vcc_lo, s4, v3
	s_wait_alu 0xfffd
	s_delay_alu instid0(VALU_DEP_3)
	v_add_co_ci_u32_e64 v6, null, s5, v4, vcc_lo
	v_mov_b32_e32 v3, v1
	global_store_b128 v[5:6], v[0:3], off
.LBB18_16:
	s_endpgm
	.section	.rodata,"a",@progbits
	.p2align	6, 0x0
	.amdhsa_kernel _ZN7rocprim17ROCPRIM_400000_NS6detail31init_lookback_scan_state_kernelINS1_19lookback_scan_stateImLb1ELb1EEENS1_16block_id_wrapperIjLb1EEEEEvT_jT0_jPNS7_10value_typeE
		.amdhsa_group_segment_fixed_size 0
		.amdhsa_private_segment_fixed_size 0
		.amdhsa_kernarg_size 296
		.amdhsa_user_sgpr_count 2
		.amdhsa_user_sgpr_dispatch_ptr 0
		.amdhsa_user_sgpr_queue_ptr 0
		.amdhsa_user_sgpr_kernarg_segment_ptr 1
		.amdhsa_user_sgpr_dispatch_id 0
		.amdhsa_user_sgpr_private_segment_size 0
		.amdhsa_wavefront_size32 1
		.amdhsa_uses_dynamic_stack 0
		.amdhsa_enable_private_segment 0
		.amdhsa_system_sgpr_workgroup_id_x 1
		.amdhsa_system_sgpr_workgroup_id_y 0
		.amdhsa_system_sgpr_workgroup_id_z 0
		.amdhsa_system_sgpr_workgroup_info 0
		.amdhsa_system_vgpr_workitem_id 0
		.amdhsa_next_free_vgpr 8
		.amdhsa_next_free_sgpr 12
		.amdhsa_reserve_vcc 1
		.amdhsa_float_round_mode_32 0
		.amdhsa_float_round_mode_16_64 0
		.amdhsa_float_denorm_mode_32 3
		.amdhsa_float_denorm_mode_16_64 3
		.amdhsa_fp16_overflow 0
		.amdhsa_workgroup_processor_mode 1
		.amdhsa_memory_ordered 1
		.amdhsa_forward_progress 1
		.amdhsa_inst_pref_size 4
		.amdhsa_round_robin_scheduling 0
		.amdhsa_exception_fp_ieee_invalid_op 0
		.amdhsa_exception_fp_denorm_src 0
		.amdhsa_exception_fp_ieee_div_zero 0
		.amdhsa_exception_fp_ieee_overflow 0
		.amdhsa_exception_fp_ieee_underflow 0
		.amdhsa_exception_fp_ieee_inexact 0
		.amdhsa_exception_int_div_zero 0
	.end_amdhsa_kernel
	.section	.text._ZN7rocprim17ROCPRIM_400000_NS6detail31init_lookback_scan_state_kernelINS1_19lookback_scan_stateImLb1ELb1EEENS1_16block_id_wrapperIjLb1EEEEEvT_jT0_jPNS7_10value_typeE,"axG",@progbits,_ZN7rocprim17ROCPRIM_400000_NS6detail31init_lookback_scan_state_kernelINS1_19lookback_scan_stateImLb1ELb1EEENS1_16block_id_wrapperIjLb1EEEEEvT_jT0_jPNS7_10value_typeE,comdat
.Lfunc_end18:
	.size	_ZN7rocprim17ROCPRIM_400000_NS6detail31init_lookback_scan_state_kernelINS1_19lookback_scan_stateImLb1ELb1EEENS1_16block_id_wrapperIjLb1EEEEEvT_jT0_jPNS7_10value_typeE, .Lfunc_end18-_ZN7rocprim17ROCPRIM_400000_NS6detail31init_lookback_scan_state_kernelINS1_19lookback_scan_stateImLb1ELb1EEENS1_16block_id_wrapperIjLb1EEEEEvT_jT0_jPNS7_10value_typeE
                                        ; -- End function
	.set _ZN7rocprim17ROCPRIM_400000_NS6detail31init_lookback_scan_state_kernelINS1_19lookback_scan_stateImLb1ELb1EEENS1_16block_id_wrapperIjLb1EEEEEvT_jT0_jPNS7_10value_typeE.num_vgpr, 8
	.set _ZN7rocprim17ROCPRIM_400000_NS6detail31init_lookback_scan_state_kernelINS1_19lookback_scan_stateImLb1ELb1EEENS1_16block_id_wrapperIjLb1EEEEEvT_jT0_jPNS7_10value_typeE.num_agpr, 0
	.set _ZN7rocprim17ROCPRIM_400000_NS6detail31init_lookback_scan_state_kernelINS1_19lookback_scan_stateImLb1ELb1EEENS1_16block_id_wrapperIjLb1EEEEEvT_jT0_jPNS7_10value_typeE.numbered_sgpr, 12
	.set _ZN7rocprim17ROCPRIM_400000_NS6detail31init_lookback_scan_state_kernelINS1_19lookback_scan_stateImLb1ELb1EEENS1_16block_id_wrapperIjLb1EEEEEvT_jT0_jPNS7_10value_typeE.num_named_barrier, 0
	.set _ZN7rocprim17ROCPRIM_400000_NS6detail31init_lookback_scan_state_kernelINS1_19lookback_scan_stateImLb1ELb1EEENS1_16block_id_wrapperIjLb1EEEEEvT_jT0_jPNS7_10value_typeE.private_seg_size, 0
	.set _ZN7rocprim17ROCPRIM_400000_NS6detail31init_lookback_scan_state_kernelINS1_19lookback_scan_stateImLb1ELb1EEENS1_16block_id_wrapperIjLb1EEEEEvT_jT0_jPNS7_10value_typeE.uses_vcc, 1
	.set _ZN7rocprim17ROCPRIM_400000_NS6detail31init_lookback_scan_state_kernelINS1_19lookback_scan_stateImLb1ELb1EEENS1_16block_id_wrapperIjLb1EEEEEvT_jT0_jPNS7_10value_typeE.uses_flat_scratch, 0
	.set _ZN7rocprim17ROCPRIM_400000_NS6detail31init_lookback_scan_state_kernelINS1_19lookback_scan_stateImLb1ELb1EEENS1_16block_id_wrapperIjLb1EEEEEvT_jT0_jPNS7_10value_typeE.has_dyn_sized_stack, 0
	.set _ZN7rocprim17ROCPRIM_400000_NS6detail31init_lookback_scan_state_kernelINS1_19lookback_scan_stateImLb1ELb1EEENS1_16block_id_wrapperIjLb1EEEEEvT_jT0_jPNS7_10value_typeE.has_recursion, 0
	.set _ZN7rocprim17ROCPRIM_400000_NS6detail31init_lookback_scan_state_kernelINS1_19lookback_scan_stateImLb1ELb1EEENS1_16block_id_wrapperIjLb1EEEEEvT_jT0_jPNS7_10value_typeE.has_indirect_call, 0
	.section	.AMDGPU.csdata,"",@progbits
; Kernel info:
; codeLenInByte = 492
; TotalNumSgprs: 14
; NumVgprs: 8
; ScratchSize: 0
; MemoryBound: 0
; FloatMode: 240
; IeeeMode: 1
; LDSByteSize: 0 bytes/workgroup (compile time only)
; SGPRBlocks: 0
; VGPRBlocks: 0
; NumSGPRsForWavesPerEU: 14
; NumVGPRsForWavesPerEU: 8
; Occupancy: 16
; WaveLimiterHint : 0
; COMPUTE_PGM_RSRC2:SCRATCH_EN: 0
; COMPUTE_PGM_RSRC2:USER_SGPR: 2
; COMPUTE_PGM_RSRC2:TRAP_HANDLER: 0
; COMPUTE_PGM_RSRC2:TGID_X_EN: 1
; COMPUTE_PGM_RSRC2:TGID_Y_EN: 0
; COMPUTE_PGM_RSRC2:TGID_Z_EN: 0
; COMPUTE_PGM_RSRC2:TIDIG_COMP_CNT: 0
	.section	.text._ZN7rocprim17ROCPRIM_400000_NS6detail17trampoline_kernelINS0_14default_configENS1_25partition_config_selectorILNS1_17partition_subalgoE5EiNS0_10empty_typeEbEEZZNS1_14partition_implILS5_5ELb0ES3_mN6thrust23THRUST_200600_302600_NS17counting_iteratorIiNSA_11use_defaultESC_SC_EEPS6_NSA_18transform_iteratorINSA_8identityIiEENSA_6detail15normal_iteratorINSA_10device_ptrIiEEEESC_SC_EENS0_5tupleIJSM_S6_EEENSO_IJSE_SE_EEES6_PlJS6_EEE10hipError_tPvRmT3_T4_T5_T6_T7_T9_mT8_P12ihipStream_tbDpT10_ENKUlT_T0_E_clISt17integral_constantIbLb1EES1B_EEDaS16_S17_EUlS16_E_NS1_11comp_targetILNS1_3genE0ELNS1_11target_archE4294967295ELNS1_3gpuE0ELNS1_3repE0EEENS1_30default_config_static_selectorELNS0_4arch9wavefront6targetE0EEEvT1_,"axG",@progbits,_ZN7rocprim17ROCPRIM_400000_NS6detail17trampoline_kernelINS0_14default_configENS1_25partition_config_selectorILNS1_17partition_subalgoE5EiNS0_10empty_typeEbEEZZNS1_14partition_implILS5_5ELb0ES3_mN6thrust23THRUST_200600_302600_NS17counting_iteratorIiNSA_11use_defaultESC_SC_EEPS6_NSA_18transform_iteratorINSA_8identityIiEENSA_6detail15normal_iteratorINSA_10device_ptrIiEEEESC_SC_EENS0_5tupleIJSM_S6_EEENSO_IJSE_SE_EEES6_PlJS6_EEE10hipError_tPvRmT3_T4_T5_T6_T7_T9_mT8_P12ihipStream_tbDpT10_ENKUlT_T0_E_clISt17integral_constantIbLb1EES1B_EEDaS16_S17_EUlS16_E_NS1_11comp_targetILNS1_3genE0ELNS1_11target_archE4294967295ELNS1_3gpuE0ELNS1_3repE0EEENS1_30default_config_static_selectorELNS0_4arch9wavefront6targetE0EEEvT1_,comdat
	.protected	_ZN7rocprim17ROCPRIM_400000_NS6detail17trampoline_kernelINS0_14default_configENS1_25partition_config_selectorILNS1_17partition_subalgoE5EiNS0_10empty_typeEbEEZZNS1_14partition_implILS5_5ELb0ES3_mN6thrust23THRUST_200600_302600_NS17counting_iteratorIiNSA_11use_defaultESC_SC_EEPS6_NSA_18transform_iteratorINSA_8identityIiEENSA_6detail15normal_iteratorINSA_10device_ptrIiEEEESC_SC_EENS0_5tupleIJSM_S6_EEENSO_IJSE_SE_EEES6_PlJS6_EEE10hipError_tPvRmT3_T4_T5_T6_T7_T9_mT8_P12ihipStream_tbDpT10_ENKUlT_T0_E_clISt17integral_constantIbLb1EES1B_EEDaS16_S17_EUlS16_E_NS1_11comp_targetILNS1_3genE0ELNS1_11target_archE4294967295ELNS1_3gpuE0ELNS1_3repE0EEENS1_30default_config_static_selectorELNS0_4arch9wavefront6targetE0EEEvT1_ ; -- Begin function _ZN7rocprim17ROCPRIM_400000_NS6detail17trampoline_kernelINS0_14default_configENS1_25partition_config_selectorILNS1_17partition_subalgoE5EiNS0_10empty_typeEbEEZZNS1_14partition_implILS5_5ELb0ES3_mN6thrust23THRUST_200600_302600_NS17counting_iteratorIiNSA_11use_defaultESC_SC_EEPS6_NSA_18transform_iteratorINSA_8identityIiEENSA_6detail15normal_iteratorINSA_10device_ptrIiEEEESC_SC_EENS0_5tupleIJSM_S6_EEENSO_IJSE_SE_EEES6_PlJS6_EEE10hipError_tPvRmT3_T4_T5_T6_T7_T9_mT8_P12ihipStream_tbDpT10_ENKUlT_T0_E_clISt17integral_constantIbLb1EES1B_EEDaS16_S17_EUlS16_E_NS1_11comp_targetILNS1_3genE0ELNS1_11target_archE4294967295ELNS1_3gpuE0ELNS1_3repE0EEENS1_30default_config_static_selectorELNS0_4arch9wavefront6targetE0EEEvT1_
	.globl	_ZN7rocprim17ROCPRIM_400000_NS6detail17trampoline_kernelINS0_14default_configENS1_25partition_config_selectorILNS1_17partition_subalgoE5EiNS0_10empty_typeEbEEZZNS1_14partition_implILS5_5ELb0ES3_mN6thrust23THRUST_200600_302600_NS17counting_iteratorIiNSA_11use_defaultESC_SC_EEPS6_NSA_18transform_iteratorINSA_8identityIiEENSA_6detail15normal_iteratorINSA_10device_ptrIiEEEESC_SC_EENS0_5tupleIJSM_S6_EEENSO_IJSE_SE_EEES6_PlJS6_EEE10hipError_tPvRmT3_T4_T5_T6_T7_T9_mT8_P12ihipStream_tbDpT10_ENKUlT_T0_E_clISt17integral_constantIbLb1EES1B_EEDaS16_S17_EUlS16_E_NS1_11comp_targetILNS1_3genE0ELNS1_11target_archE4294967295ELNS1_3gpuE0ELNS1_3repE0EEENS1_30default_config_static_selectorELNS0_4arch9wavefront6targetE0EEEvT1_
	.p2align	8
	.type	_ZN7rocprim17ROCPRIM_400000_NS6detail17trampoline_kernelINS0_14default_configENS1_25partition_config_selectorILNS1_17partition_subalgoE5EiNS0_10empty_typeEbEEZZNS1_14partition_implILS5_5ELb0ES3_mN6thrust23THRUST_200600_302600_NS17counting_iteratorIiNSA_11use_defaultESC_SC_EEPS6_NSA_18transform_iteratorINSA_8identityIiEENSA_6detail15normal_iteratorINSA_10device_ptrIiEEEESC_SC_EENS0_5tupleIJSM_S6_EEENSO_IJSE_SE_EEES6_PlJS6_EEE10hipError_tPvRmT3_T4_T5_T6_T7_T9_mT8_P12ihipStream_tbDpT10_ENKUlT_T0_E_clISt17integral_constantIbLb1EES1B_EEDaS16_S17_EUlS16_E_NS1_11comp_targetILNS1_3genE0ELNS1_11target_archE4294967295ELNS1_3gpuE0ELNS1_3repE0EEENS1_30default_config_static_selectorELNS0_4arch9wavefront6targetE0EEEvT1_,@function
_ZN7rocprim17ROCPRIM_400000_NS6detail17trampoline_kernelINS0_14default_configENS1_25partition_config_selectorILNS1_17partition_subalgoE5EiNS0_10empty_typeEbEEZZNS1_14partition_implILS5_5ELb0ES3_mN6thrust23THRUST_200600_302600_NS17counting_iteratorIiNSA_11use_defaultESC_SC_EEPS6_NSA_18transform_iteratorINSA_8identityIiEENSA_6detail15normal_iteratorINSA_10device_ptrIiEEEESC_SC_EENS0_5tupleIJSM_S6_EEENSO_IJSE_SE_EEES6_PlJS6_EEE10hipError_tPvRmT3_T4_T5_T6_T7_T9_mT8_P12ihipStream_tbDpT10_ENKUlT_T0_E_clISt17integral_constantIbLb1EES1B_EEDaS16_S17_EUlS16_E_NS1_11comp_targetILNS1_3genE0ELNS1_11target_archE4294967295ELNS1_3gpuE0ELNS1_3repE0EEENS1_30default_config_static_selectorELNS0_4arch9wavefront6targetE0EEEvT1_: ; @_ZN7rocprim17ROCPRIM_400000_NS6detail17trampoline_kernelINS0_14default_configENS1_25partition_config_selectorILNS1_17partition_subalgoE5EiNS0_10empty_typeEbEEZZNS1_14partition_implILS5_5ELb0ES3_mN6thrust23THRUST_200600_302600_NS17counting_iteratorIiNSA_11use_defaultESC_SC_EEPS6_NSA_18transform_iteratorINSA_8identityIiEENSA_6detail15normal_iteratorINSA_10device_ptrIiEEEESC_SC_EENS0_5tupleIJSM_S6_EEENSO_IJSE_SE_EEES6_PlJS6_EEE10hipError_tPvRmT3_T4_T5_T6_T7_T9_mT8_P12ihipStream_tbDpT10_ENKUlT_T0_E_clISt17integral_constantIbLb1EES1B_EEDaS16_S17_EUlS16_E_NS1_11comp_targetILNS1_3genE0ELNS1_11target_archE4294967295ELNS1_3gpuE0ELNS1_3repE0EEENS1_30default_config_static_selectorELNS0_4arch9wavefront6targetE0EEEvT1_
; %bb.0:
	.section	.rodata,"a",@progbits
	.p2align	6, 0x0
	.amdhsa_kernel _ZN7rocprim17ROCPRIM_400000_NS6detail17trampoline_kernelINS0_14default_configENS1_25partition_config_selectorILNS1_17partition_subalgoE5EiNS0_10empty_typeEbEEZZNS1_14partition_implILS5_5ELb0ES3_mN6thrust23THRUST_200600_302600_NS17counting_iteratorIiNSA_11use_defaultESC_SC_EEPS6_NSA_18transform_iteratorINSA_8identityIiEENSA_6detail15normal_iteratorINSA_10device_ptrIiEEEESC_SC_EENS0_5tupleIJSM_S6_EEENSO_IJSE_SE_EEES6_PlJS6_EEE10hipError_tPvRmT3_T4_T5_T6_T7_T9_mT8_P12ihipStream_tbDpT10_ENKUlT_T0_E_clISt17integral_constantIbLb1EES1B_EEDaS16_S17_EUlS16_E_NS1_11comp_targetILNS1_3genE0ELNS1_11target_archE4294967295ELNS1_3gpuE0ELNS1_3repE0EEENS1_30default_config_static_selectorELNS0_4arch9wavefront6targetE0EEEvT1_
		.amdhsa_group_segment_fixed_size 0
		.amdhsa_private_segment_fixed_size 0
		.amdhsa_kernarg_size 136
		.amdhsa_user_sgpr_count 2
		.amdhsa_user_sgpr_dispatch_ptr 0
		.amdhsa_user_sgpr_queue_ptr 0
		.amdhsa_user_sgpr_kernarg_segment_ptr 1
		.amdhsa_user_sgpr_dispatch_id 0
		.amdhsa_user_sgpr_private_segment_size 0
		.amdhsa_wavefront_size32 1
		.amdhsa_uses_dynamic_stack 0
		.amdhsa_enable_private_segment 0
		.amdhsa_system_sgpr_workgroup_id_x 1
		.amdhsa_system_sgpr_workgroup_id_y 0
		.amdhsa_system_sgpr_workgroup_id_z 0
		.amdhsa_system_sgpr_workgroup_info 0
		.amdhsa_system_vgpr_workitem_id 0
		.amdhsa_next_free_vgpr 1
		.amdhsa_next_free_sgpr 1
		.amdhsa_reserve_vcc 0
		.amdhsa_float_round_mode_32 0
		.amdhsa_float_round_mode_16_64 0
		.amdhsa_float_denorm_mode_32 3
		.amdhsa_float_denorm_mode_16_64 3
		.amdhsa_fp16_overflow 0
		.amdhsa_workgroup_processor_mode 1
		.amdhsa_memory_ordered 1
		.amdhsa_forward_progress 1
		.amdhsa_inst_pref_size 0
		.amdhsa_round_robin_scheduling 0
		.amdhsa_exception_fp_ieee_invalid_op 0
		.amdhsa_exception_fp_denorm_src 0
		.amdhsa_exception_fp_ieee_div_zero 0
		.amdhsa_exception_fp_ieee_overflow 0
		.amdhsa_exception_fp_ieee_underflow 0
		.amdhsa_exception_fp_ieee_inexact 0
		.amdhsa_exception_int_div_zero 0
	.end_amdhsa_kernel
	.section	.text._ZN7rocprim17ROCPRIM_400000_NS6detail17trampoline_kernelINS0_14default_configENS1_25partition_config_selectorILNS1_17partition_subalgoE5EiNS0_10empty_typeEbEEZZNS1_14partition_implILS5_5ELb0ES3_mN6thrust23THRUST_200600_302600_NS17counting_iteratorIiNSA_11use_defaultESC_SC_EEPS6_NSA_18transform_iteratorINSA_8identityIiEENSA_6detail15normal_iteratorINSA_10device_ptrIiEEEESC_SC_EENS0_5tupleIJSM_S6_EEENSO_IJSE_SE_EEES6_PlJS6_EEE10hipError_tPvRmT3_T4_T5_T6_T7_T9_mT8_P12ihipStream_tbDpT10_ENKUlT_T0_E_clISt17integral_constantIbLb1EES1B_EEDaS16_S17_EUlS16_E_NS1_11comp_targetILNS1_3genE0ELNS1_11target_archE4294967295ELNS1_3gpuE0ELNS1_3repE0EEENS1_30default_config_static_selectorELNS0_4arch9wavefront6targetE0EEEvT1_,"axG",@progbits,_ZN7rocprim17ROCPRIM_400000_NS6detail17trampoline_kernelINS0_14default_configENS1_25partition_config_selectorILNS1_17partition_subalgoE5EiNS0_10empty_typeEbEEZZNS1_14partition_implILS5_5ELb0ES3_mN6thrust23THRUST_200600_302600_NS17counting_iteratorIiNSA_11use_defaultESC_SC_EEPS6_NSA_18transform_iteratorINSA_8identityIiEENSA_6detail15normal_iteratorINSA_10device_ptrIiEEEESC_SC_EENS0_5tupleIJSM_S6_EEENSO_IJSE_SE_EEES6_PlJS6_EEE10hipError_tPvRmT3_T4_T5_T6_T7_T9_mT8_P12ihipStream_tbDpT10_ENKUlT_T0_E_clISt17integral_constantIbLb1EES1B_EEDaS16_S17_EUlS16_E_NS1_11comp_targetILNS1_3genE0ELNS1_11target_archE4294967295ELNS1_3gpuE0ELNS1_3repE0EEENS1_30default_config_static_selectorELNS0_4arch9wavefront6targetE0EEEvT1_,comdat
.Lfunc_end19:
	.size	_ZN7rocprim17ROCPRIM_400000_NS6detail17trampoline_kernelINS0_14default_configENS1_25partition_config_selectorILNS1_17partition_subalgoE5EiNS0_10empty_typeEbEEZZNS1_14partition_implILS5_5ELb0ES3_mN6thrust23THRUST_200600_302600_NS17counting_iteratorIiNSA_11use_defaultESC_SC_EEPS6_NSA_18transform_iteratorINSA_8identityIiEENSA_6detail15normal_iteratorINSA_10device_ptrIiEEEESC_SC_EENS0_5tupleIJSM_S6_EEENSO_IJSE_SE_EEES6_PlJS6_EEE10hipError_tPvRmT3_T4_T5_T6_T7_T9_mT8_P12ihipStream_tbDpT10_ENKUlT_T0_E_clISt17integral_constantIbLb1EES1B_EEDaS16_S17_EUlS16_E_NS1_11comp_targetILNS1_3genE0ELNS1_11target_archE4294967295ELNS1_3gpuE0ELNS1_3repE0EEENS1_30default_config_static_selectorELNS0_4arch9wavefront6targetE0EEEvT1_, .Lfunc_end19-_ZN7rocprim17ROCPRIM_400000_NS6detail17trampoline_kernelINS0_14default_configENS1_25partition_config_selectorILNS1_17partition_subalgoE5EiNS0_10empty_typeEbEEZZNS1_14partition_implILS5_5ELb0ES3_mN6thrust23THRUST_200600_302600_NS17counting_iteratorIiNSA_11use_defaultESC_SC_EEPS6_NSA_18transform_iteratorINSA_8identityIiEENSA_6detail15normal_iteratorINSA_10device_ptrIiEEEESC_SC_EENS0_5tupleIJSM_S6_EEENSO_IJSE_SE_EEES6_PlJS6_EEE10hipError_tPvRmT3_T4_T5_T6_T7_T9_mT8_P12ihipStream_tbDpT10_ENKUlT_T0_E_clISt17integral_constantIbLb1EES1B_EEDaS16_S17_EUlS16_E_NS1_11comp_targetILNS1_3genE0ELNS1_11target_archE4294967295ELNS1_3gpuE0ELNS1_3repE0EEENS1_30default_config_static_selectorELNS0_4arch9wavefront6targetE0EEEvT1_
                                        ; -- End function
	.set _ZN7rocprim17ROCPRIM_400000_NS6detail17trampoline_kernelINS0_14default_configENS1_25partition_config_selectorILNS1_17partition_subalgoE5EiNS0_10empty_typeEbEEZZNS1_14partition_implILS5_5ELb0ES3_mN6thrust23THRUST_200600_302600_NS17counting_iteratorIiNSA_11use_defaultESC_SC_EEPS6_NSA_18transform_iteratorINSA_8identityIiEENSA_6detail15normal_iteratorINSA_10device_ptrIiEEEESC_SC_EENS0_5tupleIJSM_S6_EEENSO_IJSE_SE_EEES6_PlJS6_EEE10hipError_tPvRmT3_T4_T5_T6_T7_T9_mT8_P12ihipStream_tbDpT10_ENKUlT_T0_E_clISt17integral_constantIbLb1EES1B_EEDaS16_S17_EUlS16_E_NS1_11comp_targetILNS1_3genE0ELNS1_11target_archE4294967295ELNS1_3gpuE0ELNS1_3repE0EEENS1_30default_config_static_selectorELNS0_4arch9wavefront6targetE0EEEvT1_.num_vgpr, 0
	.set _ZN7rocprim17ROCPRIM_400000_NS6detail17trampoline_kernelINS0_14default_configENS1_25partition_config_selectorILNS1_17partition_subalgoE5EiNS0_10empty_typeEbEEZZNS1_14partition_implILS5_5ELb0ES3_mN6thrust23THRUST_200600_302600_NS17counting_iteratorIiNSA_11use_defaultESC_SC_EEPS6_NSA_18transform_iteratorINSA_8identityIiEENSA_6detail15normal_iteratorINSA_10device_ptrIiEEEESC_SC_EENS0_5tupleIJSM_S6_EEENSO_IJSE_SE_EEES6_PlJS6_EEE10hipError_tPvRmT3_T4_T5_T6_T7_T9_mT8_P12ihipStream_tbDpT10_ENKUlT_T0_E_clISt17integral_constantIbLb1EES1B_EEDaS16_S17_EUlS16_E_NS1_11comp_targetILNS1_3genE0ELNS1_11target_archE4294967295ELNS1_3gpuE0ELNS1_3repE0EEENS1_30default_config_static_selectorELNS0_4arch9wavefront6targetE0EEEvT1_.num_agpr, 0
	.set _ZN7rocprim17ROCPRIM_400000_NS6detail17trampoline_kernelINS0_14default_configENS1_25partition_config_selectorILNS1_17partition_subalgoE5EiNS0_10empty_typeEbEEZZNS1_14partition_implILS5_5ELb0ES3_mN6thrust23THRUST_200600_302600_NS17counting_iteratorIiNSA_11use_defaultESC_SC_EEPS6_NSA_18transform_iteratorINSA_8identityIiEENSA_6detail15normal_iteratorINSA_10device_ptrIiEEEESC_SC_EENS0_5tupleIJSM_S6_EEENSO_IJSE_SE_EEES6_PlJS6_EEE10hipError_tPvRmT3_T4_T5_T6_T7_T9_mT8_P12ihipStream_tbDpT10_ENKUlT_T0_E_clISt17integral_constantIbLb1EES1B_EEDaS16_S17_EUlS16_E_NS1_11comp_targetILNS1_3genE0ELNS1_11target_archE4294967295ELNS1_3gpuE0ELNS1_3repE0EEENS1_30default_config_static_selectorELNS0_4arch9wavefront6targetE0EEEvT1_.numbered_sgpr, 0
	.set _ZN7rocprim17ROCPRIM_400000_NS6detail17trampoline_kernelINS0_14default_configENS1_25partition_config_selectorILNS1_17partition_subalgoE5EiNS0_10empty_typeEbEEZZNS1_14partition_implILS5_5ELb0ES3_mN6thrust23THRUST_200600_302600_NS17counting_iteratorIiNSA_11use_defaultESC_SC_EEPS6_NSA_18transform_iteratorINSA_8identityIiEENSA_6detail15normal_iteratorINSA_10device_ptrIiEEEESC_SC_EENS0_5tupleIJSM_S6_EEENSO_IJSE_SE_EEES6_PlJS6_EEE10hipError_tPvRmT3_T4_T5_T6_T7_T9_mT8_P12ihipStream_tbDpT10_ENKUlT_T0_E_clISt17integral_constantIbLb1EES1B_EEDaS16_S17_EUlS16_E_NS1_11comp_targetILNS1_3genE0ELNS1_11target_archE4294967295ELNS1_3gpuE0ELNS1_3repE0EEENS1_30default_config_static_selectorELNS0_4arch9wavefront6targetE0EEEvT1_.num_named_barrier, 0
	.set _ZN7rocprim17ROCPRIM_400000_NS6detail17trampoline_kernelINS0_14default_configENS1_25partition_config_selectorILNS1_17partition_subalgoE5EiNS0_10empty_typeEbEEZZNS1_14partition_implILS5_5ELb0ES3_mN6thrust23THRUST_200600_302600_NS17counting_iteratorIiNSA_11use_defaultESC_SC_EEPS6_NSA_18transform_iteratorINSA_8identityIiEENSA_6detail15normal_iteratorINSA_10device_ptrIiEEEESC_SC_EENS0_5tupleIJSM_S6_EEENSO_IJSE_SE_EEES6_PlJS6_EEE10hipError_tPvRmT3_T4_T5_T6_T7_T9_mT8_P12ihipStream_tbDpT10_ENKUlT_T0_E_clISt17integral_constantIbLb1EES1B_EEDaS16_S17_EUlS16_E_NS1_11comp_targetILNS1_3genE0ELNS1_11target_archE4294967295ELNS1_3gpuE0ELNS1_3repE0EEENS1_30default_config_static_selectorELNS0_4arch9wavefront6targetE0EEEvT1_.private_seg_size, 0
	.set _ZN7rocprim17ROCPRIM_400000_NS6detail17trampoline_kernelINS0_14default_configENS1_25partition_config_selectorILNS1_17partition_subalgoE5EiNS0_10empty_typeEbEEZZNS1_14partition_implILS5_5ELb0ES3_mN6thrust23THRUST_200600_302600_NS17counting_iteratorIiNSA_11use_defaultESC_SC_EEPS6_NSA_18transform_iteratorINSA_8identityIiEENSA_6detail15normal_iteratorINSA_10device_ptrIiEEEESC_SC_EENS0_5tupleIJSM_S6_EEENSO_IJSE_SE_EEES6_PlJS6_EEE10hipError_tPvRmT3_T4_T5_T6_T7_T9_mT8_P12ihipStream_tbDpT10_ENKUlT_T0_E_clISt17integral_constantIbLb1EES1B_EEDaS16_S17_EUlS16_E_NS1_11comp_targetILNS1_3genE0ELNS1_11target_archE4294967295ELNS1_3gpuE0ELNS1_3repE0EEENS1_30default_config_static_selectorELNS0_4arch9wavefront6targetE0EEEvT1_.uses_vcc, 0
	.set _ZN7rocprim17ROCPRIM_400000_NS6detail17trampoline_kernelINS0_14default_configENS1_25partition_config_selectorILNS1_17partition_subalgoE5EiNS0_10empty_typeEbEEZZNS1_14partition_implILS5_5ELb0ES3_mN6thrust23THRUST_200600_302600_NS17counting_iteratorIiNSA_11use_defaultESC_SC_EEPS6_NSA_18transform_iteratorINSA_8identityIiEENSA_6detail15normal_iteratorINSA_10device_ptrIiEEEESC_SC_EENS0_5tupleIJSM_S6_EEENSO_IJSE_SE_EEES6_PlJS6_EEE10hipError_tPvRmT3_T4_T5_T6_T7_T9_mT8_P12ihipStream_tbDpT10_ENKUlT_T0_E_clISt17integral_constantIbLb1EES1B_EEDaS16_S17_EUlS16_E_NS1_11comp_targetILNS1_3genE0ELNS1_11target_archE4294967295ELNS1_3gpuE0ELNS1_3repE0EEENS1_30default_config_static_selectorELNS0_4arch9wavefront6targetE0EEEvT1_.uses_flat_scratch, 0
	.set _ZN7rocprim17ROCPRIM_400000_NS6detail17trampoline_kernelINS0_14default_configENS1_25partition_config_selectorILNS1_17partition_subalgoE5EiNS0_10empty_typeEbEEZZNS1_14partition_implILS5_5ELb0ES3_mN6thrust23THRUST_200600_302600_NS17counting_iteratorIiNSA_11use_defaultESC_SC_EEPS6_NSA_18transform_iteratorINSA_8identityIiEENSA_6detail15normal_iteratorINSA_10device_ptrIiEEEESC_SC_EENS0_5tupleIJSM_S6_EEENSO_IJSE_SE_EEES6_PlJS6_EEE10hipError_tPvRmT3_T4_T5_T6_T7_T9_mT8_P12ihipStream_tbDpT10_ENKUlT_T0_E_clISt17integral_constantIbLb1EES1B_EEDaS16_S17_EUlS16_E_NS1_11comp_targetILNS1_3genE0ELNS1_11target_archE4294967295ELNS1_3gpuE0ELNS1_3repE0EEENS1_30default_config_static_selectorELNS0_4arch9wavefront6targetE0EEEvT1_.has_dyn_sized_stack, 0
	.set _ZN7rocprim17ROCPRIM_400000_NS6detail17trampoline_kernelINS0_14default_configENS1_25partition_config_selectorILNS1_17partition_subalgoE5EiNS0_10empty_typeEbEEZZNS1_14partition_implILS5_5ELb0ES3_mN6thrust23THRUST_200600_302600_NS17counting_iteratorIiNSA_11use_defaultESC_SC_EEPS6_NSA_18transform_iteratorINSA_8identityIiEENSA_6detail15normal_iteratorINSA_10device_ptrIiEEEESC_SC_EENS0_5tupleIJSM_S6_EEENSO_IJSE_SE_EEES6_PlJS6_EEE10hipError_tPvRmT3_T4_T5_T6_T7_T9_mT8_P12ihipStream_tbDpT10_ENKUlT_T0_E_clISt17integral_constantIbLb1EES1B_EEDaS16_S17_EUlS16_E_NS1_11comp_targetILNS1_3genE0ELNS1_11target_archE4294967295ELNS1_3gpuE0ELNS1_3repE0EEENS1_30default_config_static_selectorELNS0_4arch9wavefront6targetE0EEEvT1_.has_recursion, 0
	.set _ZN7rocprim17ROCPRIM_400000_NS6detail17trampoline_kernelINS0_14default_configENS1_25partition_config_selectorILNS1_17partition_subalgoE5EiNS0_10empty_typeEbEEZZNS1_14partition_implILS5_5ELb0ES3_mN6thrust23THRUST_200600_302600_NS17counting_iteratorIiNSA_11use_defaultESC_SC_EEPS6_NSA_18transform_iteratorINSA_8identityIiEENSA_6detail15normal_iteratorINSA_10device_ptrIiEEEESC_SC_EENS0_5tupleIJSM_S6_EEENSO_IJSE_SE_EEES6_PlJS6_EEE10hipError_tPvRmT3_T4_T5_T6_T7_T9_mT8_P12ihipStream_tbDpT10_ENKUlT_T0_E_clISt17integral_constantIbLb1EES1B_EEDaS16_S17_EUlS16_E_NS1_11comp_targetILNS1_3genE0ELNS1_11target_archE4294967295ELNS1_3gpuE0ELNS1_3repE0EEENS1_30default_config_static_selectorELNS0_4arch9wavefront6targetE0EEEvT1_.has_indirect_call, 0
	.section	.AMDGPU.csdata,"",@progbits
; Kernel info:
; codeLenInByte = 0
; TotalNumSgprs: 0
; NumVgprs: 0
; ScratchSize: 0
; MemoryBound: 0
; FloatMode: 240
; IeeeMode: 1
; LDSByteSize: 0 bytes/workgroup (compile time only)
; SGPRBlocks: 0
; VGPRBlocks: 0
; NumSGPRsForWavesPerEU: 1
; NumVGPRsForWavesPerEU: 1
; Occupancy: 16
; WaveLimiterHint : 0
; COMPUTE_PGM_RSRC2:SCRATCH_EN: 0
; COMPUTE_PGM_RSRC2:USER_SGPR: 2
; COMPUTE_PGM_RSRC2:TRAP_HANDLER: 0
; COMPUTE_PGM_RSRC2:TGID_X_EN: 1
; COMPUTE_PGM_RSRC2:TGID_Y_EN: 0
; COMPUTE_PGM_RSRC2:TGID_Z_EN: 0
; COMPUTE_PGM_RSRC2:TIDIG_COMP_CNT: 0
	.section	.text._ZN7rocprim17ROCPRIM_400000_NS6detail17trampoline_kernelINS0_14default_configENS1_25partition_config_selectorILNS1_17partition_subalgoE5EiNS0_10empty_typeEbEEZZNS1_14partition_implILS5_5ELb0ES3_mN6thrust23THRUST_200600_302600_NS17counting_iteratorIiNSA_11use_defaultESC_SC_EEPS6_NSA_18transform_iteratorINSA_8identityIiEENSA_6detail15normal_iteratorINSA_10device_ptrIiEEEESC_SC_EENS0_5tupleIJSM_S6_EEENSO_IJSE_SE_EEES6_PlJS6_EEE10hipError_tPvRmT3_T4_T5_T6_T7_T9_mT8_P12ihipStream_tbDpT10_ENKUlT_T0_E_clISt17integral_constantIbLb1EES1B_EEDaS16_S17_EUlS16_E_NS1_11comp_targetILNS1_3genE5ELNS1_11target_archE942ELNS1_3gpuE9ELNS1_3repE0EEENS1_30default_config_static_selectorELNS0_4arch9wavefront6targetE0EEEvT1_,"axG",@progbits,_ZN7rocprim17ROCPRIM_400000_NS6detail17trampoline_kernelINS0_14default_configENS1_25partition_config_selectorILNS1_17partition_subalgoE5EiNS0_10empty_typeEbEEZZNS1_14partition_implILS5_5ELb0ES3_mN6thrust23THRUST_200600_302600_NS17counting_iteratorIiNSA_11use_defaultESC_SC_EEPS6_NSA_18transform_iteratorINSA_8identityIiEENSA_6detail15normal_iteratorINSA_10device_ptrIiEEEESC_SC_EENS0_5tupleIJSM_S6_EEENSO_IJSE_SE_EEES6_PlJS6_EEE10hipError_tPvRmT3_T4_T5_T6_T7_T9_mT8_P12ihipStream_tbDpT10_ENKUlT_T0_E_clISt17integral_constantIbLb1EES1B_EEDaS16_S17_EUlS16_E_NS1_11comp_targetILNS1_3genE5ELNS1_11target_archE942ELNS1_3gpuE9ELNS1_3repE0EEENS1_30default_config_static_selectorELNS0_4arch9wavefront6targetE0EEEvT1_,comdat
	.protected	_ZN7rocprim17ROCPRIM_400000_NS6detail17trampoline_kernelINS0_14default_configENS1_25partition_config_selectorILNS1_17partition_subalgoE5EiNS0_10empty_typeEbEEZZNS1_14partition_implILS5_5ELb0ES3_mN6thrust23THRUST_200600_302600_NS17counting_iteratorIiNSA_11use_defaultESC_SC_EEPS6_NSA_18transform_iteratorINSA_8identityIiEENSA_6detail15normal_iteratorINSA_10device_ptrIiEEEESC_SC_EENS0_5tupleIJSM_S6_EEENSO_IJSE_SE_EEES6_PlJS6_EEE10hipError_tPvRmT3_T4_T5_T6_T7_T9_mT8_P12ihipStream_tbDpT10_ENKUlT_T0_E_clISt17integral_constantIbLb1EES1B_EEDaS16_S17_EUlS16_E_NS1_11comp_targetILNS1_3genE5ELNS1_11target_archE942ELNS1_3gpuE9ELNS1_3repE0EEENS1_30default_config_static_selectorELNS0_4arch9wavefront6targetE0EEEvT1_ ; -- Begin function _ZN7rocprim17ROCPRIM_400000_NS6detail17trampoline_kernelINS0_14default_configENS1_25partition_config_selectorILNS1_17partition_subalgoE5EiNS0_10empty_typeEbEEZZNS1_14partition_implILS5_5ELb0ES3_mN6thrust23THRUST_200600_302600_NS17counting_iteratorIiNSA_11use_defaultESC_SC_EEPS6_NSA_18transform_iteratorINSA_8identityIiEENSA_6detail15normal_iteratorINSA_10device_ptrIiEEEESC_SC_EENS0_5tupleIJSM_S6_EEENSO_IJSE_SE_EEES6_PlJS6_EEE10hipError_tPvRmT3_T4_T5_T6_T7_T9_mT8_P12ihipStream_tbDpT10_ENKUlT_T0_E_clISt17integral_constantIbLb1EES1B_EEDaS16_S17_EUlS16_E_NS1_11comp_targetILNS1_3genE5ELNS1_11target_archE942ELNS1_3gpuE9ELNS1_3repE0EEENS1_30default_config_static_selectorELNS0_4arch9wavefront6targetE0EEEvT1_
	.globl	_ZN7rocprim17ROCPRIM_400000_NS6detail17trampoline_kernelINS0_14default_configENS1_25partition_config_selectorILNS1_17partition_subalgoE5EiNS0_10empty_typeEbEEZZNS1_14partition_implILS5_5ELb0ES3_mN6thrust23THRUST_200600_302600_NS17counting_iteratorIiNSA_11use_defaultESC_SC_EEPS6_NSA_18transform_iteratorINSA_8identityIiEENSA_6detail15normal_iteratorINSA_10device_ptrIiEEEESC_SC_EENS0_5tupleIJSM_S6_EEENSO_IJSE_SE_EEES6_PlJS6_EEE10hipError_tPvRmT3_T4_T5_T6_T7_T9_mT8_P12ihipStream_tbDpT10_ENKUlT_T0_E_clISt17integral_constantIbLb1EES1B_EEDaS16_S17_EUlS16_E_NS1_11comp_targetILNS1_3genE5ELNS1_11target_archE942ELNS1_3gpuE9ELNS1_3repE0EEENS1_30default_config_static_selectorELNS0_4arch9wavefront6targetE0EEEvT1_
	.p2align	8
	.type	_ZN7rocprim17ROCPRIM_400000_NS6detail17trampoline_kernelINS0_14default_configENS1_25partition_config_selectorILNS1_17partition_subalgoE5EiNS0_10empty_typeEbEEZZNS1_14partition_implILS5_5ELb0ES3_mN6thrust23THRUST_200600_302600_NS17counting_iteratorIiNSA_11use_defaultESC_SC_EEPS6_NSA_18transform_iteratorINSA_8identityIiEENSA_6detail15normal_iteratorINSA_10device_ptrIiEEEESC_SC_EENS0_5tupleIJSM_S6_EEENSO_IJSE_SE_EEES6_PlJS6_EEE10hipError_tPvRmT3_T4_T5_T6_T7_T9_mT8_P12ihipStream_tbDpT10_ENKUlT_T0_E_clISt17integral_constantIbLb1EES1B_EEDaS16_S17_EUlS16_E_NS1_11comp_targetILNS1_3genE5ELNS1_11target_archE942ELNS1_3gpuE9ELNS1_3repE0EEENS1_30default_config_static_selectorELNS0_4arch9wavefront6targetE0EEEvT1_,@function
_ZN7rocprim17ROCPRIM_400000_NS6detail17trampoline_kernelINS0_14default_configENS1_25partition_config_selectorILNS1_17partition_subalgoE5EiNS0_10empty_typeEbEEZZNS1_14partition_implILS5_5ELb0ES3_mN6thrust23THRUST_200600_302600_NS17counting_iteratorIiNSA_11use_defaultESC_SC_EEPS6_NSA_18transform_iteratorINSA_8identityIiEENSA_6detail15normal_iteratorINSA_10device_ptrIiEEEESC_SC_EENS0_5tupleIJSM_S6_EEENSO_IJSE_SE_EEES6_PlJS6_EEE10hipError_tPvRmT3_T4_T5_T6_T7_T9_mT8_P12ihipStream_tbDpT10_ENKUlT_T0_E_clISt17integral_constantIbLb1EES1B_EEDaS16_S17_EUlS16_E_NS1_11comp_targetILNS1_3genE5ELNS1_11target_archE942ELNS1_3gpuE9ELNS1_3repE0EEENS1_30default_config_static_selectorELNS0_4arch9wavefront6targetE0EEEvT1_: ; @_ZN7rocprim17ROCPRIM_400000_NS6detail17trampoline_kernelINS0_14default_configENS1_25partition_config_selectorILNS1_17partition_subalgoE5EiNS0_10empty_typeEbEEZZNS1_14partition_implILS5_5ELb0ES3_mN6thrust23THRUST_200600_302600_NS17counting_iteratorIiNSA_11use_defaultESC_SC_EEPS6_NSA_18transform_iteratorINSA_8identityIiEENSA_6detail15normal_iteratorINSA_10device_ptrIiEEEESC_SC_EENS0_5tupleIJSM_S6_EEENSO_IJSE_SE_EEES6_PlJS6_EEE10hipError_tPvRmT3_T4_T5_T6_T7_T9_mT8_P12ihipStream_tbDpT10_ENKUlT_T0_E_clISt17integral_constantIbLb1EES1B_EEDaS16_S17_EUlS16_E_NS1_11comp_targetILNS1_3genE5ELNS1_11target_archE942ELNS1_3gpuE9ELNS1_3repE0EEENS1_30default_config_static_selectorELNS0_4arch9wavefront6targetE0EEEvT1_
; %bb.0:
	.section	.rodata,"a",@progbits
	.p2align	6, 0x0
	.amdhsa_kernel _ZN7rocprim17ROCPRIM_400000_NS6detail17trampoline_kernelINS0_14default_configENS1_25partition_config_selectorILNS1_17partition_subalgoE5EiNS0_10empty_typeEbEEZZNS1_14partition_implILS5_5ELb0ES3_mN6thrust23THRUST_200600_302600_NS17counting_iteratorIiNSA_11use_defaultESC_SC_EEPS6_NSA_18transform_iteratorINSA_8identityIiEENSA_6detail15normal_iteratorINSA_10device_ptrIiEEEESC_SC_EENS0_5tupleIJSM_S6_EEENSO_IJSE_SE_EEES6_PlJS6_EEE10hipError_tPvRmT3_T4_T5_T6_T7_T9_mT8_P12ihipStream_tbDpT10_ENKUlT_T0_E_clISt17integral_constantIbLb1EES1B_EEDaS16_S17_EUlS16_E_NS1_11comp_targetILNS1_3genE5ELNS1_11target_archE942ELNS1_3gpuE9ELNS1_3repE0EEENS1_30default_config_static_selectorELNS0_4arch9wavefront6targetE0EEEvT1_
		.amdhsa_group_segment_fixed_size 0
		.amdhsa_private_segment_fixed_size 0
		.amdhsa_kernarg_size 136
		.amdhsa_user_sgpr_count 2
		.amdhsa_user_sgpr_dispatch_ptr 0
		.amdhsa_user_sgpr_queue_ptr 0
		.amdhsa_user_sgpr_kernarg_segment_ptr 1
		.amdhsa_user_sgpr_dispatch_id 0
		.amdhsa_user_sgpr_private_segment_size 0
		.amdhsa_wavefront_size32 1
		.amdhsa_uses_dynamic_stack 0
		.amdhsa_enable_private_segment 0
		.amdhsa_system_sgpr_workgroup_id_x 1
		.amdhsa_system_sgpr_workgroup_id_y 0
		.amdhsa_system_sgpr_workgroup_id_z 0
		.amdhsa_system_sgpr_workgroup_info 0
		.amdhsa_system_vgpr_workitem_id 0
		.amdhsa_next_free_vgpr 1
		.amdhsa_next_free_sgpr 1
		.amdhsa_reserve_vcc 0
		.amdhsa_float_round_mode_32 0
		.amdhsa_float_round_mode_16_64 0
		.amdhsa_float_denorm_mode_32 3
		.amdhsa_float_denorm_mode_16_64 3
		.amdhsa_fp16_overflow 0
		.amdhsa_workgroup_processor_mode 1
		.amdhsa_memory_ordered 1
		.amdhsa_forward_progress 1
		.amdhsa_inst_pref_size 0
		.amdhsa_round_robin_scheduling 0
		.amdhsa_exception_fp_ieee_invalid_op 0
		.amdhsa_exception_fp_denorm_src 0
		.amdhsa_exception_fp_ieee_div_zero 0
		.amdhsa_exception_fp_ieee_overflow 0
		.amdhsa_exception_fp_ieee_underflow 0
		.amdhsa_exception_fp_ieee_inexact 0
		.amdhsa_exception_int_div_zero 0
	.end_amdhsa_kernel
	.section	.text._ZN7rocprim17ROCPRIM_400000_NS6detail17trampoline_kernelINS0_14default_configENS1_25partition_config_selectorILNS1_17partition_subalgoE5EiNS0_10empty_typeEbEEZZNS1_14partition_implILS5_5ELb0ES3_mN6thrust23THRUST_200600_302600_NS17counting_iteratorIiNSA_11use_defaultESC_SC_EEPS6_NSA_18transform_iteratorINSA_8identityIiEENSA_6detail15normal_iteratorINSA_10device_ptrIiEEEESC_SC_EENS0_5tupleIJSM_S6_EEENSO_IJSE_SE_EEES6_PlJS6_EEE10hipError_tPvRmT3_T4_T5_T6_T7_T9_mT8_P12ihipStream_tbDpT10_ENKUlT_T0_E_clISt17integral_constantIbLb1EES1B_EEDaS16_S17_EUlS16_E_NS1_11comp_targetILNS1_3genE5ELNS1_11target_archE942ELNS1_3gpuE9ELNS1_3repE0EEENS1_30default_config_static_selectorELNS0_4arch9wavefront6targetE0EEEvT1_,"axG",@progbits,_ZN7rocprim17ROCPRIM_400000_NS6detail17trampoline_kernelINS0_14default_configENS1_25partition_config_selectorILNS1_17partition_subalgoE5EiNS0_10empty_typeEbEEZZNS1_14partition_implILS5_5ELb0ES3_mN6thrust23THRUST_200600_302600_NS17counting_iteratorIiNSA_11use_defaultESC_SC_EEPS6_NSA_18transform_iteratorINSA_8identityIiEENSA_6detail15normal_iteratorINSA_10device_ptrIiEEEESC_SC_EENS0_5tupleIJSM_S6_EEENSO_IJSE_SE_EEES6_PlJS6_EEE10hipError_tPvRmT3_T4_T5_T6_T7_T9_mT8_P12ihipStream_tbDpT10_ENKUlT_T0_E_clISt17integral_constantIbLb1EES1B_EEDaS16_S17_EUlS16_E_NS1_11comp_targetILNS1_3genE5ELNS1_11target_archE942ELNS1_3gpuE9ELNS1_3repE0EEENS1_30default_config_static_selectorELNS0_4arch9wavefront6targetE0EEEvT1_,comdat
.Lfunc_end20:
	.size	_ZN7rocprim17ROCPRIM_400000_NS6detail17trampoline_kernelINS0_14default_configENS1_25partition_config_selectorILNS1_17partition_subalgoE5EiNS0_10empty_typeEbEEZZNS1_14partition_implILS5_5ELb0ES3_mN6thrust23THRUST_200600_302600_NS17counting_iteratorIiNSA_11use_defaultESC_SC_EEPS6_NSA_18transform_iteratorINSA_8identityIiEENSA_6detail15normal_iteratorINSA_10device_ptrIiEEEESC_SC_EENS0_5tupleIJSM_S6_EEENSO_IJSE_SE_EEES6_PlJS6_EEE10hipError_tPvRmT3_T4_T5_T6_T7_T9_mT8_P12ihipStream_tbDpT10_ENKUlT_T0_E_clISt17integral_constantIbLb1EES1B_EEDaS16_S17_EUlS16_E_NS1_11comp_targetILNS1_3genE5ELNS1_11target_archE942ELNS1_3gpuE9ELNS1_3repE0EEENS1_30default_config_static_selectorELNS0_4arch9wavefront6targetE0EEEvT1_, .Lfunc_end20-_ZN7rocprim17ROCPRIM_400000_NS6detail17trampoline_kernelINS0_14default_configENS1_25partition_config_selectorILNS1_17partition_subalgoE5EiNS0_10empty_typeEbEEZZNS1_14partition_implILS5_5ELb0ES3_mN6thrust23THRUST_200600_302600_NS17counting_iteratorIiNSA_11use_defaultESC_SC_EEPS6_NSA_18transform_iteratorINSA_8identityIiEENSA_6detail15normal_iteratorINSA_10device_ptrIiEEEESC_SC_EENS0_5tupleIJSM_S6_EEENSO_IJSE_SE_EEES6_PlJS6_EEE10hipError_tPvRmT3_T4_T5_T6_T7_T9_mT8_P12ihipStream_tbDpT10_ENKUlT_T0_E_clISt17integral_constantIbLb1EES1B_EEDaS16_S17_EUlS16_E_NS1_11comp_targetILNS1_3genE5ELNS1_11target_archE942ELNS1_3gpuE9ELNS1_3repE0EEENS1_30default_config_static_selectorELNS0_4arch9wavefront6targetE0EEEvT1_
                                        ; -- End function
	.set _ZN7rocprim17ROCPRIM_400000_NS6detail17trampoline_kernelINS0_14default_configENS1_25partition_config_selectorILNS1_17partition_subalgoE5EiNS0_10empty_typeEbEEZZNS1_14partition_implILS5_5ELb0ES3_mN6thrust23THRUST_200600_302600_NS17counting_iteratorIiNSA_11use_defaultESC_SC_EEPS6_NSA_18transform_iteratorINSA_8identityIiEENSA_6detail15normal_iteratorINSA_10device_ptrIiEEEESC_SC_EENS0_5tupleIJSM_S6_EEENSO_IJSE_SE_EEES6_PlJS6_EEE10hipError_tPvRmT3_T4_T5_T6_T7_T9_mT8_P12ihipStream_tbDpT10_ENKUlT_T0_E_clISt17integral_constantIbLb1EES1B_EEDaS16_S17_EUlS16_E_NS1_11comp_targetILNS1_3genE5ELNS1_11target_archE942ELNS1_3gpuE9ELNS1_3repE0EEENS1_30default_config_static_selectorELNS0_4arch9wavefront6targetE0EEEvT1_.num_vgpr, 0
	.set _ZN7rocprim17ROCPRIM_400000_NS6detail17trampoline_kernelINS0_14default_configENS1_25partition_config_selectorILNS1_17partition_subalgoE5EiNS0_10empty_typeEbEEZZNS1_14partition_implILS5_5ELb0ES3_mN6thrust23THRUST_200600_302600_NS17counting_iteratorIiNSA_11use_defaultESC_SC_EEPS6_NSA_18transform_iteratorINSA_8identityIiEENSA_6detail15normal_iteratorINSA_10device_ptrIiEEEESC_SC_EENS0_5tupleIJSM_S6_EEENSO_IJSE_SE_EEES6_PlJS6_EEE10hipError_tPvRmT3_T4_T5_T6_T7_T9_mT8_P12ihipStream_tbDpT10_ENKUlT_T0_E_clISt17integral_constantIbLb1EES1B_EEDaS16_S17_EUlS16_E_NS1_11comp_targetILNS1_3genE5ELNS1_11target_archE942ELNS1_3gpuE9ELNS1_3repE0EEENS1_30default_config_static_selectorELNS0_4arch9wavefront6targetE0EEEvT1_.num_agpr, 0
	.set _ZN7rocprim17ROCPRIM_400000_NS6detail17trampoline_kernelINS0_14default_configENS1_25partition_config_selectorILNS1_17partition_subalgoE5EiNS0_10empty_typeEbEEZZNS1_14partition_implILS5_5ELb0ES3_mN6thrust23THRUST_200600_302600_NS17counting_iteratorIiNSA_11use_defaultESC_SC_EEPS6_NSA_18transform_iteratorINSA_8identityIiEENSA_6detail15normal_iteratorINSA_10device_ptrIiEEEESC_SC_EENS0_5tupleIJSM_S6_EEENSO_IJSE_SE_EEES6_PlJS6_EEE10hipError_tPvRmT3_T4_T5_T6_T7_T9_mT8_P12ihipStream_tbDpT10_ENKUlT_T0_E_clISt17integral_constantIbLb1EES1B_EEDaS16_S17_EUlS16_E_NS1_11comp_targetILNS1_3genE5ELNS1_11target_archE942ELNS1_3gpuE9ELNS1_3repE0EEENS1_30default_config_static_selectorELNS0_4arch9wavefront6targetE0EEEvT1_.numbered_sgpr, 0
	.set _ZN7rocprim17ROCPRIM_400000_NS6detail17trampoline_kernelINS0_14default_configENS1_25partition_config_selectorILNS1_17partition_subalgoE5EiNS0_10empty_typeEbEEZZNS1_14partition_implILS5_5ELb0ES3_mN6thrust23THRUST_200600_302600_NS17counting_iteratorIiNSA_11use_defaultESC_SC_EEPS6_NSA_18transform_iteratorINSA_8identityIiEENSA_6detail15normal_iteratorINSA_10device_ptrIiEEEESC_SC_EENS0_5tupleIJSM_S6_EEENSO_IJSE_SE_EEES6_PlJS6_EEE10hipError_tPvRmT3_T4_T5_T6_T7_T9_mT8_P12ihipStream_tbDpT10_ENKUlT_T0_E_clISt17integral_constantIbLb1EES1B_EEDaS16_S17_EUlS16_E_NS1_11comp_targetILNS1_3genE5ELNS1_11target_archE942ELNS1_3gpuE9ELNS1_3repE0EEENS1_30default_config_static_selectorELNS0_4arch9wavefront6targetE0EEEvT1_.num_named_barrier, 0
	.set _ZN7rocprim17ROCPRIM_400000_NS6detail17trampoline_kernelINS0_14default_configENS1_25partition_config_selectorILNS1_17partition_subalgoE5EiNS0_10empty_typeEbEEZZNS1_14partition_implILS5_5ELb0ES3_mN6thrust23THRUST_200600_302600_NS17counting_iteratorIiNSA_11use_defaultESC_SC_EEPS6_NSA_18transform_iteratorINSA_8identityIiEENSA_6detail15normal_iteratorINSA_10device_ptrIiEEEESC_SC_EENS0_5tupleIJSM_S6_EEENSO_IJSE_SE_EEES6_PlJS6_EEE10hipError_tPvRmT3_T4_T5_T6_T7_T9_mT8_P12ihipStream_tbDpT10_ENKUlT_T0_E_clISt17integral_constantIbLb1EES1B_EEDaS16_S17_EUlS16_E_NS1_11comp_targetILNS1_3genE5ELNS1_11target_archE942ELNS1_3gpuE9ELNS1_3repE0EEENS1_30default_config_static_selectorELNS0_4arch9wavefront6targetE0EEEvT1_.private_seg_size, 0
	.set _ZN7rocprim17ROCPRIM_400000_NS6detail17trampoline_kernelINS0_14default_configENS1_25partition_config_selectorILNS1_17partition_subalgoE5EiNS0_10empty_typeEbEEZZNS1_14partition_implILS5_5ELb0ES3_mN6thrust23THRUST_200600_302600_NS17counting_iteratorIiNSA_11use_defaultESC_SC_EEPS6_NSA_18transform_iteratorINSA_8identityIiEENSA_6detail15normal_iteratorINSA_10device_ptrIiEEEESC_SC_EENS0_5tupleIJSM_S6_EEENSO_IJSE_SE_EEES6_PlJS6_EEE10hipError_tPvRmT3_T4_T5_T6_T7_T9_mT8_P12ihipStream_tbDpT10_ENKUlT_T0_E_clISt17integral_constantIbLb1EES1B_EEDaS16_S17_EUlS16_E_NS1_11comp_targetILNS1_3genE5ELNS1_11target_archE942ELNS1_3gpuE9ELNS1_3repE0EEENS1_30default_config_static_selectorELNS0_4arch9wavefront6targetE0EEEvT1_.uses_vcc, 0
	.set _ZN7rocprim17ROCPRIM_400000_NS6detail17trampoline_kernelINS0_14default_configENS1_25partition_config_selectorILNS1_17partition_subalgoE5EiNS0_10empty_typeEbEEZZNS1_14partition_implILS5_5ELb0ES3_mN6thrust23THRUST_200600_302600_NS17counting_iteratorIiNSA_11use_defaultESC_SC_EEPS6_NSA_18transform_iteratorINSA_8identityIiEENSA_6detail15normal_iteratorINSA_10device_ptrIiEEEESC_SC_EENS0_5tupleIJSM_S6_EEENSO_IJSE_SE_EEES6_PlJS6_EEE10hipError_tPvRmT3_T4_T5_T6_T7_T9_mT8_P12ihipStream_tbDpT10_ENKUlT_T0_E_clISt17integral_constantIbLb1EES1B_EEDaS16_S17_EUlS16_E_NS1_11comp_targetILNS1_3genE5ELNS1_11target_archE942ELNS1_3gpuE9ELNS1_3repE0EEENS1_30default_config_static_selectorELNS0_4arch9wavefront6targetE0EEEvT1_.uses_flat_scratch, 0
	.set _ZN7rocprim17ROCPRIM_400000_NS6detail17trampoline_kernelINS0_14default_configENS1_25partition_config_selectorILNS1_17partition_subalgoE5EiNS0_10empty_typeEbEEZZNS1_14partition_implILS5_5ELb0ES3_mN6thrust23THRUST_200600_302600_NS17counting_iteratorIiNSA_11use_defaultESC_SC_EEPS6_NSA_18transform_iteratorINSA_8identityIiEENSA_6detail15normal_iteratorINSA_10device_ptrIiEEEESC_SC_EENS0_5tupleIJSM_S6_EEENSO_IJSE_SE_EEES6_PlJS6_EEE10hipError_tPvRmT3_T4_T5_T6_T7_T9_mT8_P12ihipStream_tbDpT10_ENKUlT_T0_E_clISt17integral_constantIbLb1EES1B_EEDaS16_S17_EUlS16_E_NS1_11comp_targetILNS1_3genE5ELNS1_11target_archE942ELNS1_3gpuE9ELNS1_3repE0EEENS1_30default_config_static_selectorELNS0_4arch9wavefront6targetE0EEEvT1_.has_dyn_sized_stack, 0
	.set _ZN7rocprim17ROCPRIM_400000_NS6detail17trampoline_kernelINS0_14default_configENS1_25partition_config_selectorILNS1_17partition_subalgoE5EiNS0_10empty_typeEbEEZZNS1_14partition_implILS5_5ELb0ES3_mN6thrust23THRUST_200600_302600_NS17counting_iteratorIiNSA_11use_defaultESC_SC_EEPS6_NSA_18transform_iteratorINSA_8identityIiEENSA_6detail15normal_iteratorINSA_10device_ptrIiEEEESC_SC_EENS0_5tupleIJSM_S6_EEENSO_IJSE_SE_EEES6_PlJS6_EEE10hipError_tPvRmT3_T4_T5_T6_T7_T9_mT8_P12ihipStream_tbDpT10_ENKUlT_T0_E_clISt17integral_constantIbLb1EES1B_EEDaS16_S17_EUlS16_E_NS1_11comp_targetILNS1_3genE5ELNS1_11target_archE942ELNS1_3gpuE9ELNS1_3repE0EEENS1_30default_config_static_selectorELNS0_4arch9wavefront6targetE0EEEvT1_.has_recursion, 0
	.set _ZN7rocprim17ROCPRIM_400000_NS6detail17trampoline_kernelINS0_14default_configENS1_25partition_config_selectorILNS1_17partition_subalgoE5EiNS0_10empty_typeEbEEZZNS1_14partition_implILS5_5ELb0ES3_mN6thrust23THRUST_200600_302600_NS17counting_iteratorIiNSA_11use_defaultESC_SC_EEPS6_NSA_18transform_iteratorINSA_8identityIiEENSA_6detail15normal_iteratorINSA_10device_ptrIiEEEESC_SC_EENS0_5tupleIJSM_S6_EEENSO_IJSE_SE_EEES6_PlJS6_EEE10hipError_tPvRmT3_T4_T5_T6_T7_T9_mT8_P12ihipStream_tbDpT10_ENKUlT_T0_E_clISt17integral_constantIbLb1EES1B_EEDaS16_S17_EUlS16_E_NS1_11comp_targetILNS1_3genE5ELNS1_11target_archE942ELNS1_3gpuE9ELNS1_3repE0EEENS1_30default_config_static_selectorELNS0_4arch9wavefront6targetE0EEEvT1_.has_indirect_call, 0
	.section	.AMDGPU.csdata,"",@progbits
; Kernel info:
; codeLenInByte = 0
; TotalNumSgprs: 0
; NumVgprs: 0
; ScratchSize: 0
; MemoryBound: 0
; FloatMode: 240
; IeeeMode: 1
; LDSByteSize: 0 bytes/workgroup (compile time only)
; SGPRBlocks: 0
; VGPRBlocks: 0
; NumSGPRsForWavesPerEU: 1
; NumVGPRsForWavesPerEU: 1
; Occupancy: 16
; WaveLimiterHint : 0
; COMPUTE_PGM_RSRC2:SCRATCH_EN: 0
; COMPUTE_PGM_RSRC2:USER_SGPR: 2
; COMPUTE_PGM_RSRC2:TRAP_HANDLER: 0
; COMPUTE_PGM_RSRC2:TGID_X_EN: 1
; COMPUTE_PGM_RSRC2:TGID_Y_EN: 0
; COMPUTE_PGM_RSRC2:TGID_Z_EN: 0
; COMPUTE_PGM_RSRC2:TIDIG_COMP_CNT: 0
	.section	.text._ZN7rocprim17ROCPRIM_400000_NS6detail17trampoline_kernelINS0_14default_configENS1_25partition_config_selectorILNS1_17partition_subalgoE5EiNS0_10empty_typeEbEEZZNS1_14partition_implILS5_5ELb0ES3_mN6thrust23THRUST_200600_302600_NS17counting_iteratorIiNSA_11use_defaultESC_SC_EEPS6_NSA_18transform_iteratorINSA_8identityIiEENSA_6detail15normal_iteratorINSA_10device_ptrIiEEEESC_SC_EENS0_5tupleIJSM_S6_EEENSO_IJSE_SE_EEES6_PlJS6_EEE10hipError_tPvRmT3_T4_T5_T6_T7_T9_mT8_P12ihipStream_tbDpT10_ENKUlT_T0_E_clISt17integral_constantIbLb1EES1B_EEDaS16_S17_EUlS16_E_NS1_11comp_targetILNS1_3genE4ELNS1_11target_archE910ELNS1_3gpuE8ELNS1_3repE0EEENS1_30default_config_static_selectorELNS0_4arch9wavefront6targetE0EEEvT1_,"axG",@progbits,_ZN7rocprim17ROCPRIM_400000_NS6detail17trampoline_kernelINS0_14default_configENS1_25partition_config_selectorILNS1_17partition_subalgoE5EiNS0_10empty_typeEbEEZZNS1_14partition_implILS5_5ELb0ES3_mN6thrust23THRUST_200600_302600_NS17counting_iteratorIiNSA_11use_defaultESC_SC_EEPS6_NSA_18transform_iteratorINSA_8identityIiEENSA_6detail15normal_iteratorINSA_10device_ptrIiEEEESC_SC_EENS0_5tupleIJSM_S6_EEENSO_IJSE_SE_EEES6_PlJS6_EEE10hipError_tPvRmT3_T4_T5_T6_T7_T9_mT8_P12ihipStream_tbDpT10_ENKUlT_T0_E_clISt17integral_constantIbLb1EES1B_EEDaS16_S17_EUlS16_E_NS1_11comp_targetILNS1_3genE4ELNS1_11target_archE910ELNS1_3gpuE8ELNS1_3repE0EEENS1_30default_config_static_selectorELNS0_4arch9wavefront6targetE0EEEvT1_,comdat
	.protected	_ZN7rocprim17ROCPRIM_400000_NS6detail17trampoline_kernelINS0_14default_configENS1_25partition_config_selectorILNS1_17partition_subalgoE5EiNS0_10empty_typeEbEEZZNS1_14partition_implILS5_5ELb0ES3_mN6thrust23THRUST_200600_302600_NS17counting_iteratorIiNSA_11use_defaultESC_SC_EEPS6_NSA_18transform_iteratorINSA_8identityIiEENSA_6detail15normal_iteratorINSA_10device_ptrIiEEEESC_SC_EENS0_5tupleIJSM_S6_EEENSO_IJSE_SE_EEES6_PlJS6_EEE10hipError_tPvRmT3_T4_T5_T6_T7_T9_mT8_P12ihipStream_tbDpT10_ENKUlT_T0_E_clISt17integral_constantIbLb1EES1B_EEDaS16_S17_EUlS16_E_NS1_11comp_targetILNS1_3genE4ELNS1_11target_archE910ELNS1_3gpuE8ELNS1_3repE0EEENS1_30default_config_static_selectorELNS0_4arch9wavefront6targetE0EEEvT1_ ; -- Begin function _ZN7rocprim17ROCPRIM_400000_NS6detail17trampoline_kernelINS0_14default_configENS1_25partition_config_selectorILNS1_17partition_subalgoE5EiNS0_10empty_typeEbEEZZNS1_14partition_implILS5_5ELb0ES3_mN6thrust23THRUST_200600_302600_NS17counting_iteratorIiNSA_11use_defaultESC_SC_EEPS6_NSA_18transform_iteratorINSA_8identityIiEENSA_6detail15normal_iteratorINSA_10device_ptrIiEEEESC_SC_EENS0_5tupleIJSM_S6_EEENSO_IJSE_SE_EEES6_PlJS6_EEE10hipError_tPvRmT3_T4_T5_T6_T7_T9_mT8_P12ihipStream_tbDpT10_ENKUlT_T0_E_clISt17integral_constantIbLb1EES1B_EEDaS16_S17_EUlS16_E_NS1_11comp_targetILNS1_3genE4ELNS1_11target_archE910ELNS1_3gpuE8ELNS1_3repE0EEENS1_30default_config_static_selectorELNS0_4arch9wavefront6targetE0EEEvT1_
	.globl	_ZN7rocprim17ROCPRIM_400000_NS6detail17trampoline_kernelINS0_14default_configENS1_25partition_config_selectorILNS1_17partition_subalgoE5EiNS0_10empty_typeEbEEZZNS1_14partition_implILS5_5ELb0ES3_mN6thrust23THRUST_200600_302600_NS17counting_iteratorIiNSA_11use_defaultESC_SC_EEPS6_NSA_18transform_iteratorINSA_8identityIiEENSA_6detail15normal_iteratorINSA_10device_ptrIiEEEESC_SC_EENS0_5tupleIJSM_S6_EEENSO_IJSE_SE_EEES6_PlJS6_EEE10hipError_tPvRmT3_T4_T5_T6_T7_T9_mT8_P12ihipStream_tbDpT10_ENKUlT_T0_E_clISt17integral_constantIbLb1EES1B_EEDaS16_S17_EUlS16_E_NS1_11comp_targetILNS1_3genE4ELNS1_11target_archE910ELNS1_3gpuE8ELNS1_3repE0EEENS1_30default_config_static_selectorELNS0_4arch9wavefront6targetE0EEEvT1_
	.p2align	8
	.type	_ZN7rocprim17ROCPRIM_400000_NS6detail17trampoline_kernelINS0_14default_configENS1_25partition_config_selectorILNS1_17partition_subalgoE5EiNS0_10empty_typeEbEEZZNS1_14partition_implILS5_5ELb0ES3_mN6thrust23THRUST_200600_302600_NS17counting_iteratorIiNSA_11use_defaultESC_SC_EEPS6_NSA_18transform_iteratorINSA_8identityIiEENSA_6detail15normal_iteratorINSA_10device_ptrIiEEEESC_SC_EENS0_5tupleIJSM_S6_EEENSO_IJSE_SE_EEES6_PlJS6_EEE10hipError_tPvRmT3_T4_T5_T6_T7_T9_mT8_P12ihipStream_tbDpT10_ENKUlT_T0_E_clISt17integral_constantIbLb1EES1B_EEDaS16_S17_EUlS16_E_NS1_11comp_targetILNS1_3genE4ELNS1_11target_archE910ELNS1_3gpuE8ELNS1_3repE0EEENS1_30default_config_static_selectorELNS0_4arch9wavefront6targetE0EEEvT1_,@function
_ZN7rocprim17ROCPRIM_400000_NS6detail17trampoline_kernelINS0_14default_configENS1_25partition_config_selectorILNS1_17partition_subalgoE5EiNS0_10empty_typeEbEEZZNS1_14partition_implILS5_5ELb0ES3_mN6thrust23THRUST_200600_302600_NS17counting_iteratorIiNSA_11use_defaultESC_SC_EEPS6_NSA_18transform_iteratorINSA_8identityIiEENSA_6detail15normal_iteratorINSA_10device_ptrIiEEEESC_SC_EENS0_5tupleIJSM_S6_EEENSO_IJSE_SE_EEES6_PlJS6_EEE10hipError_tPvRmT3_T4_T5_T6_T7_T9_mT8_P12ihipStream_tbDpT10_ENKUlT_T0_E_clISt17integral_constantIbLb1EES1B_EEDaS16_S17_EUlS16_E_NS1_11comp_targetILNS1_3genE4ELNS1_11target_archE910ELNS1_3gpuE8ELNS1_3repE0EEENS1_30default_config_static_selectorELNS0_4arch9wavefront6targetE0EEEvT1_: ; @_ZN7rocprim17ROCPRIM_400000_NS6detail17trampoline_kernelINS0_14default_configENS1_25partition_config_selectorILNS1_17partition_subalgoE5EiNS0_10empty_typeEbEEZZNS1_14partition_implILS5_5ELb0ES3_mN6thrust23THRUST_200600_302600_NS17counting_iteratorIiNSA_11use_defaultESC_SC_EEPS6_NSA_18transform_iteratorINSA_8identityIiEENSA_6detail15normal_iteratorINSA_10device_ptrIiEEEESC_SC_EENS0_5tupleIJSM_S6_EEENSO_IJSE_SE_EEES6_PlJS6_EEE10hipError_tPvRmT3_T4_T5_T6_T7_T9_mT8_P12ihipStream_tbDpT10_ENKUlT_T0_E_clISt17integral_constantIbLb1EES1B_EEDaS16_S17_EUlS16_E_NS1_11comp_targetILNS1_3genE4ELNS1_11target_archE910ELNS1_3gpuE8ELNS1_3repE0EEENS1_30default_config_static_selectorELNS0_4arch9wavefront6targetE0EEEvT1_
; %bb.0:
	.section	.rodata,"a",@progbits
	.p2align	6, 0x0
	.amdhsa_kernel _ZN7rocprim17ROCPRIM_400000_NS6detail17trampoline_kernelINS0_14default_configENS1_25partition_config_selectorILNS1_17partition_subalgoE5EiNS0_10empty_typeEbEEZZNS1_14partition_implILS5_5ELb0ES3_mN6thrust23THRUST_200600_302600_NS17counting_iteratorIiNSA_11use_defaultESC_SC_EEPS6_NSA_18transform_iteratorINSA_8identityIiEENSA_6detail15normal_iteratorINSA_10device_ptrIiEEEESC_SC_EENS0_5tupleIJSM_S6_EEENSO_IJSE_SE_EEES6_PlJS6_EEE10hipError_tPvRmT3_T4_T5_T6_T7_T9_mT8_P12ihipStream_tbDpT10_ENKUlT_T0_E_clISt17integral_constantIbLb1EES1B_EEDaS16_S17_EUlS16_E_NS1_11comp_targetILNS1_3genE4ELNS1_11target_archE910ELNS1_3gpuE8ELNS1_3repE0EEENS1_30default_config_static_selectorELNS0_4arch9wavefront6targetE0EEEvT1_
		.amdhsa_group_segment_fixed_size 0
		.amdhsa_private_segment_fixed_size 0
		.amdhsa_kernarg_size 136
		.amdhsa_user_sgpr_count 2
		.amdhsa_user_sgpr_dispatch_ptr 0
		.amdhsa_user_sgpr_queue_ptr 0
		.amdhsa_user_sgpr_kernarg_segment_ptr 1
		.amdhsa_user_sgpr_dispatch_id 0
		.amdhsa_user_sgpr_private_segment_size 0
		.amdhsa_wavefront_size32 1
		.amdhsa_uses_dynamic_stack 0
		.amdhsa_enable_private_segment 0
		.amdhsa_system_sgpr_workgroup_id_x 1
		.amdhsa_system_sgpr_workgroup_id_y 0
		.amdhsa_system_sgpr_workgroup_id_z 0
		.amdhsa_system_sgpr_workgroup_info 0
		.amdhsa_system_vgpr_workitem_id 0
		.amdhsa_next_free_vgpr 1
		.amdhsa_next_free_sgpr 1
		.amdhsa_reserve_vcc 0
		.amdhsa_float_round_mode_32 0
		.amdhsa_float_round_mode_16_64 0
		.amdhsa_float_denorm_mode_32 3
		.amdhsa_float_denorm_mode_16_64 3
		.amdhsa_fp16_overflow 0
		.amdhsa_workgroup_processor_mode 1
		.amdhsa_memory_ordered 1
		.amdhsa_forward_progress 1
		.amdhsa_inst_pref_size 0
		.amdhsa_round_robin_scheduling 0
		.amdhsa_exception_fp_ieee_invalid_op 0
		.amdhsa_exception_fp_denorm_src 0
		.amdhsa_exception_fp_ieee_div_zero 0
		.amdhsa_exception_fp_ieee_overflow 0
		.amdhsa_exception_fp_ieee_underflow 0
		.amdhsa_exception_fp_ieee_inexact 0
		.amdhsa_exception_int_div_zero 0
	.end_amdhsa_kernel
	.section	.text._ZN7rocprim17ROCPRIM_400000_NS6detail17trampoline_kernelINS0_14default_configENS1_25partition_config_selectorILNS1_17partition_subalgoE5EiNS0_10empty_typeEbEEZZNS1_14partition_implILS5_5ELb0ES3_mN6thrust23THRUST_200600_302600_NS17counting_iteratorIiNSA_11use_defaultESC_SC_EEPS6_NSA_18transform_iteratorINSA_8identityIiEENSA_6detail15normal_iteratorINSA_10device_ptrIiEEEESC_SC_EENS0_5tupleIJSM_S6_EEENSO_IJSE_SE_EEES6_PlJS6_EEE10hipError_tPvRmT3_T4_T5_T6_T7_T9_mT8_P12ihipStream_tbDpT10_ENKUlT_T0_E_clISt17integral_constantIbLb1EES1B_EEDaS16_S17_EUlS16_E_NS1_11comp_targetILNS1_3genE4ELNS1_11target_archE910ELNS1_3gpuE8ELNS1_3repE0EEENS1_30default_config_static_selectorELNS0_4arch9wavefront6targetE0EEEvT1_,"axG",@progbits,_ZN7rocprim17ROCPRIM_400000_NS6detail17trampoline_kernelINS0_14default_configENS1_25partition_config_selectorILNS1_17partition_subalgoE5EiNS0_10empty_typeEbEEZZNS1_14partition_implILS5_5ELb0ES3_mN6thrust23THRUST_200600_302600_NS17counting_iteratorIiNSA_11use_defaultESC_SC_EEPS6_NSA_18transform_iteratorINSA_8identityIiEENSA_6detail15normal_iteratorINSA_10device_ptrIiEEEESC_SC_EENS0_5tupleIJSM_S6_EEENSO_IJSE_SE_EEES6_PlJS6_EEE10hipError_tPvRmT3_T4_T5_T6_T7_T9_mT8_P12ihipStream_tbDpT10_ENKUlT_T0_E_clISt17integral_constantIbLb1EES1B_EEDaS16_S17_EUlS16_E_NS1_11comp_targetILNS1_3genE4ELNS1_11target_archE910ELNS1_3gpuE8ELNS1_3repE0EEENS1_30default_config_static_selectorELNS0_4arch9wavefront6targetE0EEEvT1_,comdat
.Lfunc_end21:
	.size	_ZN7rocprim17ROCPRIM_400000_NS6detail17trampoline_kernelINS0_14default_configENS1_25partition_config_selectorILNS1_17partition_subalgoE5EiNS0_10empty_typeEbEEZZNS1_14partition_implILS5_5ELb0ES3_mN6thrust23THRUST_200600_302600_NS17counting_iteratorIiNSA_11use_defaultESC_SC_EEPS6_NSA_18transform_iteratorINSA_8identityIiEENSA_6detail15normal_iteratorINSA_10device_ptrIiEEEESC_SC_EENS0_5tupleIJSM_S6_EEENSO_IJSE_SE_EEES6_PlJS6_EEE10hipError_tPvRmT3_T4_T5_T6_T7_T9_mT8_P12ihipStream_tbDpT10_ENKUlT_T0_E_clISt17integral_constantIbLb1EES1B_EEDaS16_S17_EUlS16_E_NS1_11comp_targetILNS1_3genE4ELNS1_11target_archE910ELNS1_3gpuE8ELNS1_3repE0EEENS1_30default_config_static_selectorELNS0_4arch9wavefront6targetE0EEEvT1_, .Lfunc_end21-_ZN7rocprim17ROCPRIM_400000_NS6detail17trampoline_kernelINS0_14default_configENS1_25partition_config_selectorILNS1_17partition_subalgoE5EiNS0_10empty_typeEbEEZZNS1_14partition_implILS5_5ELb0ES3_mN6thrust23THRUST_200600_302600_NS17counting_iteratorIiNSA_11use_defaultESC_SC_EEPS6_NSA_18transform_iteratorINSA_8identityIiEENSA_6detail15normal_iteratorINSA_10device_ptrIiEEEESC_SC_EENS0_5tupleIJSM_S6_EEENSO_IJSE_SE_EEES6_PlJS6_EEE10hipError_tPvRmT3_T4_T5_T6_T7_T9_mT8_P12ihipStream_tbDpT10_ENKUlT_T0_E_clISt17integral_constantIbLb1EES1B_EEDaS16_S17_EUlS16_E_NS1_11comp_targetILNS1_3genE4ELNS1_11target_archE910ELNS1_3gpuE8ELNS1_3repE0EEENS1_30default_config_static_selectorELNS0_4arch9wavefront6targetE0EEEvT1_
                                        ; -- End function
	.set _ZN7rocprim17ROCPRIM_400000_NS6detail17trampoline_kernelINS0_14default_configENS1_25partition_config_selectorILNS1_17partition_subalgoE5EiNS0_10empty_typeEbEEZZNS1_14partition_implILS5_5ELb0ES3_mN6thrust23THRUST_200600_302600_NS17counting_iteratorIiNSA_11use_defaultESC_SC_EEPS6_NSA_18transform_iteratorINSA_8identityIiEENSA_6detail15normal_iteratorINSA_10device_ptrIiEEEESC_SC_EENS0_5tupleIJSM_S6_EEENSO_IJSE_SE_EEES6_PlJS6_EEE10hipError_tPvRmT3_T4_T5_T6_T7_T9_mT8_P12ihipStream_tbDpT10_ENKUlT_T0_E_clISt17integral_constantIbLb1EES1B_EEDaS16_S17_EUlS16_E_NS1_11comp_targetILNS1_3genE4ELNS1_11target_archE910ELNS1_3gpuE8ELNS1_3repE0EEENS1_30default_config_static_selectorELNS0_4arch9wavefront6targetE0EEEvT1_.num_vgpr, 0
	.set _ZN7rocprim17ROCPRIM_400000_NS6detail17trampoline_kernelINS0_14default_configENS1_25partition_config_selectorILNS1_17partition_subalgoE5EiNS0_10empty_typeEbEEZZNS1_14partition_implILS5_5ELb0ES3_mN6thrust23THRUST_200600_302600_NS17counting_iteratorIiNSA_11use_defaultESC_SC_EEPS6_NSA_18transform_iteratorINSA_8identityIiEENSA_6detail15normal_iteratorINSA_10device_ptrIiEEEESC_SC_EENS0_5tupleIJSM_S6_EEENSO_IJSE_SE_EEES6_PlJS6_EEE10hipError_tPvRmT3_T4_T5_T6_T7_T9_mT8_P12ihipStream_tbDpT10_ENKUlT_T0_E_clISt17integral_constantIbLb1EES1B_EEDaS16_S17_EUlS16_E_NS1_11comp_targetILNS1_3genE4ELNS1_11target_archE910ELNS1_3gpuE8ELNS1_3repE0EEENS1_30default_config_static_selectorELNS0_4arch9wavefront6targetE0EEEvT1_.num_agpr, 0
	.set _ZN7rocprim17ROCPRIM_400000_NS6detail17trampoline_kernelINS0_14default_configENS1_25partition_config_selectorILNS1_17partition_subalgoE5EiNS0_10empty_typeEbEEZZNS1_14partition_implILS5_5ELb0ES3_mN6thrust23THRUST_200600_302600_NS17counting_iteratorIiNSA_11use_defaultESC_SC_EEPS6_NSA_18transform_iteratorINSA_8identityIiEENSA_6detail15normal_iteratorINSA_10device_ptrIiEEEESC_SC_EENS0_5tupleIJSM_S6_EEENSO_IJSE_SE_EEES6_PlJS6_EEE10hipError_tPvRmT3_T4_T5_T6_T7_T9_mT8_P12ihipStream_tbDpT10_ENKUlT_T0_E_clISt17integral_constantIbLb1EES1B_EEDaS16_S17_EUlS16_E_NS1_11comp_targetILNS1_3genE4ELNS1_11target_archE910ELNS1_3gpuE8ELNS1_3repE0EEENS1_30default_config_static_selectorELNS0_4arch9wavefront6targetE0EEEvT1_.numbered_sgpr, 0
	.set _ZN7rocprim17ROCPRIM_400000_NS6detail17trampoline_kernelINS0_14default_configENS1_25partition_config_selectorILNS1_17partition_subalgoE5EiNS0_10empty_typeEbEEZZNS1_14partition_implILS5_5ELb0ES3_mN6thrust23THRUST_200600_302600_NS17counting_iteratorIiNSA_11use_defaultESC_SC_EEPS6_NSA_18transform_iteratorINSA_8identityIiEENSA_6detail15normal_iteratorINSA_10device_ptrIiEEEESC_SC_EENS0_5tupleIJSM_S6_EEENSO_IJSE_SE_EEES6_PlJS6_EEE10hipError_tPvRmT3_T4_T5_T6_T7_T9_mT8_P12ihipStream_tbDpT10_ENKUlT_T0_E_clISt17integral_constantIbLb1EES1B_EEDaS16_S17_EUlS16_E_NS1_11comp_targetILNS1_3genE4ELNS1_11target_archE910ELNS1_3gpuE8ELNS1_3repE0EEENS1_30default_config_static_selectorELNS0_4arch9wavefront6targetE0EEEvT1_.num_named_barrier, 0
	.set _ZN7rocprim17ROCPRIM_400000_NS6detail17trampoline_kernelINS0_14default_configENS1_25partition_config_selectorILNS1_17partition_subalgoE5EiNS0_10empty_typeEbEEZZNS1_14partition_implILS5_5ELb0ES3_mN6thrust23THRUST_200600_302600_NS17counting_iteratorIiNSA_11use_defaultESC_SC_EEPS6_NSA_18transform_iteratorINSA_8identityIiEENSA_6detail15normal_iteratorINSA_10device_ptrIiEEEESC_SC_EENS0_5tupleIJSM_S6_EEENSO_IJSE_SE_EEES6_PlJS6_EEE10hipError_tPvRmT3_T4_T5_T6_T7_T9_mT8_P12ihipStream_tbDpT10_ENKUlT_T0_E_clISt17integral_constantIbLb1EES1B_EEDaS16_S17_EUlS16_E_NS1_11comp_targetILNS1_3genE4ELNS1_11target_archE910ELNS1_3gpuE8ELNS1_3repE0EEENS1_30default_config_static_selectorELNS0_4arch9wavefront6targetE0EEEvT1_.private_seg_size, 0
	.set _ZN7rocprim17ROCPRIM_400000_NS6detail17trampoline_kernelINS0_14default_configENS1_25partition_config_selectorILNS1_17partition_subalgoE5EiNS0_10empty_typeEbEEZZNS1_14partition_implILS5_5ELb0ES3_mN6thrust23THRUST_200600_302600_NS17counting_iteratorIiNSA_11use_defaultESC_SC_EEPS6_NSA_18transform_iteratorINSA_8identityIiEENSA_6detail15normal_iteratorINSA_10device_ptrIiEEEESC_SC_EENS0_5tupleIJSM_S6_EEENSO_IJSE_SE_EEES6_PlJS6_EEE10hipError_tPvRmT3_T4_T5_T6_T7_T9_mT8_P12ihipStream_tbDpT10_ENKUlT_T0_E_clISt17integral_constantIbLb1EES1B_EEDaS16_S17_EUlS16_E_NS1_11comp_targetILNS1_3genE4ELNS1_11target_archE910ELNS1_3gpuE8ELNS1_3repE0EEENS1_30default_config_static_selectorELNS0_4arch9wavefront6targetE0EEEvT1_.uses_vcc, 0
	.set _ZN7rocprim17ROCPRIM_400000_NS6detail17trampoline_kernelINS0_14default_configENS1_25partition_config_selectorILNS1_17partition_subalgoE5EiNS0_10empty_typeEbEEZZNS1_14partition_implILS5_5ELb0ES3_mN6thrust23THRUST_200600_302600_NS17counting_iteratorIiNSA_11use_defaultESC_SC_EEPS6_NSA_18transform_iteratorINSA_8identityIiEENSA_6detail15normal_iteratorINSA_10device_ptrIiEEEESC_SC_EENS0_5tupleIJSM_S6_EEENSO_IJSE_SE_EEES6_PlJS6_EEE10hipError_tPvRmT3_T4_T5_T6_T7_T9_mT8_P12ihipStream_tbDpT10_ENKUlT_T0_E_clISt17integral_constantIbLb1EES1B_EEDaS16_S17_EUlS16_E_NS1_11comp_targetILNS1_3genE4ELNS1_11target_archE910ELNS1_3gpuE8ELNS1_3repE0EEENS1_30default_config_static_selectorELNS0_4arch9wavefront6targetE0EEEvT1_.uses_flat_scratch, 0
	.set _ZN7rocprim17ROCPRIM_400000_NS6detail17trampoline_kernelINS0_14default_configENS1_25partition_config_selectorILNS1_17partition_subalgoE5EiNS0_10empty_typeEbEEZZNS1_14partition_implILS5_5ELb0ES3_mN6thrust23THRUST_200600_302600_NS17counting_iteratorIiNSA_11use_defaultESC_SC_EEPS6_NSA_18transform_iteratorINSA_8identityIiEENSA_6detail15normal_iteratorINSA_10device_ptrIiEEEESC_SC_EENS0_5tupleIJSM_S6_EEENSO_IJSE_SE_EEES6_PlJS6_EEE10hipError_tPvRmT3_T4_T5_T6_T7_T9_mT8_P12ihipStream_tbDpT10_ENKUlT_T0_E_clISt17integral_constantIbLb1EES1B_EEDaS16_S17_EUlS16_E_NS1_11comp_targetILNS1_3genE4ELNS1_11target_archE910ELNS1_3gpuE8ELNS1_3repE0EEENS1_30default_config_static_selectorELNS0_4arch9wavefront6targetE0EEEvT1_.has_dyn_sized_stack, 0
	.set _ZN7rocprim17ROCPRIM_400000_NS6detail17trampoline_kernelINS0_14default_configENS1_25partition_config_selectorILNS1_17partition_subalgoE5EiNS0_10empty_typeEbEEZZNS1_14partition_implILS5_5ELb0ES3_mN6thrust23THRUST_200600_302600_NS17counting_iteratorIiNSA_11use_defaultESC_SC_EEPS6_NSA_18transform_iteratorINSA_8identityIiEENSA_6detail15normal_iteratorINSA_10device_ptrIiEEEESC_SC_EENS0_5tupleIJSM_S6_EEENSO_IJSE_SE_EEES6_PlJS6_EEE10hipError_tPvRmT3_T4_T5_T6_T7_T9_mT8_P12ihipStream_tbDpT10_ENKUlT_T0_E_clISt17integral_constantIbLb1EES1B_EEDaS16_S17_EUlS16_E_NS1_11comp_targetILNS1_3genE4ELNS1_11target_archE910ELNS1_3gpuE8ELNS1_3repE0EEENS1_30default_config_static_selectorELNS0_4arch9wavefront6targetE0EEEvT1_.has_recursion, 0
	.set _ZN7rocprim17ROCPRIM_400000_NS6detail17trampoline_kernelINS0_14default_configENS1_25partition_config_selectorILNS1_17partition_subalgoE5EiNS0_10empty_typeEbEEZZNS1_14partition_implILS5_5ELb0ES3_mN6thrust23THRUST_200600_302600_NS17counting_iteratorIiNSA_11use_defaultESC_SC_EEPS6_NSA_18transform_iteratorINSA_8identityIiEENSA_6detail15normal_iteratorINSA_10device_ptrIiEEEESC_SC_EENS0_5tupleIJSM_S6_EEENSO_IJSE_SE_EEES6_PlJS6_EEE10hipError_tPvRmT3_T4_T5_T6_T7_T9_mT8_P12ihipStream_tbDpT10_ENKUlT_T0_E_clISt17integral_constantIbLb1EES1B_EEDaS16_S17_EUlS16_E_NS1_11comp_targetILNS1_3genE4ELNS1_11target_archE910ELNS1_3gpuE8ELNS1_3repE0EEENS1_30default_config_static_selectorELNS0_4arch9wavefront6targetE0EEEvT1_.has_indirect_call, 0
	.section	.AMDGPU.csdata,"",@progbits
; Kernel info:
; codeLenInByte = 0
; TotalNumSgprs: 0
; NumVgprs: 0
; ScratchSize: 0
; MemoryBound: 0
; FloatMode: 240
; IeeeMode: 1
; LDSByteSize: 0 bytes/workgroup (compile time only)
; SGPRBlocks: 0
; VGPRBlocks: 0
; NumSGPRsForWavesPerEU: 1
; NumVGPRsForWavesPerEU: 1
; Occupancy: 16
; WaveLimiterHint : 0
; COMPUTE_PGM_RSRC2:SCRATCH_EN: 0
; COMPUTE_PGM_RSRC2:USER_SGPR: 2
; COMPUTE_PGM_RSRC2:TRAP_HANDLER: 0
; COMPUTE_PGM_RSRC2:TGID_X_EN: 1
; COMPUTE_PGM_RSRC2:TGID_Y_EN: 0
; COMPUTE_PGM_RSRC2:TGID_Z_EN: 0
; COMPUTE_PGM_RSRC2:TIDIG_COMP_CNT: 0
	.section	.text._ZN7rocprim17ROCPRIM_400000_NS6detail17trampoline_kernelINS0_14default_configENS1_25partition_config_selectorILNS1_17partition_subalgoE5EiNS0_10empty_typeEbEEZZNS1_14partition_implILS5_5ELb0ES3_mN6thrust23THRUST_200600_302600_NS17counting_iteratorIiNSA_11use_defaultESC_SC_EEPS6_NSA_18transform_iteratorINSA_8identityIiEENSA_6detail15normal_iteratorINSA_10device_ptrIiEEEESC_SC_EENS0_5tupleIJSM_S6_EEENSO_IJSE_SE_EEES6_PlJS6_EEE10hipError_tPvRmT3_T4_T5_T6_T7_T9_mT8_P12ihipStream_tbDpT10_ENKUlT_T0_E_clISt17integral_constantIbLb1EES1B_EEDaS16_S17_EUlS16_E_NS1_11comp_targetILNS1_3genE3ELNS1_11target_archE908ELNS1_3gpuE7ELNS1_3repE0EEENS1_30default_config_static_selectorELNS0_4arch9wavefront6targetE0EEEvT1_,"axG",@progbits,_ZN7rocprim17ROCPRIM_400000_NS6detail17trampoline_kernelINS0_14default_configENS1_25partition_config_selectorILNS1_17partition_subalgoE5EiNS0_10empty_typeEbEEZZNS1_14partition_implILS5_5ELb0ES3_mN6thrust23THRUST_200600_302600_NS17counting_iteratorIiNSA_11use_defaultESC_SC_EEPS6_NSA_18transform_iteratorINSA_8identityIiEENSA_6detail15normal_iteratorINSA_10device_ptrIiEEEESC_SC_EENS0_5tupleIJSM_S6_EEENSO_IJSE_SE_EEES6_PlJS6_EEE10hipError_tPvRmT3_T4_T5_T6_T7_T9_mT8_P12ihipStream_tbDpT10_ENKUlT_T0_E_clISt17integral_constantIbLb1EES1B_EEDaS16_S17_EUlS16_E_NS1_11comp_targetILNS1_3genE3ELNS1_11target_archE908ELNS1_3gpuE7ELNS1_3repE0EEENS1_30default_config_static_selectorELNS0_4arch9wavefront6targetE0EEEvT1_,comdat
	.protected	_ZN7rocprim17ROCPRIM_400000_NS6detail17trampoline_kernelINS0_14default_configENS1_25partition_config_selectorILNS1_17partition_subalgoE5EiNS0_10empty_typeEbEEZZNS1_14partition_implILS5_5ELb0ES3_mN6thrust23THRUST_200600_302600_NS17counting_iteratorIiNSA_11use_defaultESC_SC_EEPS6_NSA_18transform_iteratorINSA_8identityIiEENSA_6detail15normal_iteratorINSA_10device_ptrIiEEEESC_SC_EENS0_5tupleIJSM_S6_EEENSO_IJSE_SE_EEES6_PlJS6_EEE10hipError_tPvRmT3_T4_T5_T6_T7_T9_mT8_P12ihipStream_tbDpT10_ENKUlT_T0_E_clISt17integral_constantIbLb1EES1B_EEDaS16_S17_EUlS16_E_NS1_11comp_targetILNS1_3genE3ELNS1_11target_archE908ELNS1_3gpuE7ELNS1_3repE0EEENS1_30default_config_static_selectorELNS0_4arch9wavefront6targetE0EEEvT1_ ; -- Begin function _ZN7rocprim17ROCPRIM_400000_NS6detail17trampoline_kernelINS0_14default_configENS1_25partition_config_selectorILNS1_17partition_subalgoE5EiNS0_10empty_typeEbEEZZNS1_14partition_implILS5_5ELb0ES3_mN6thrust23THRUST_200600_302600_NS17counting_iteratorIiNSA_11use_defaultESC_SC_EEPS6_NSA_18transform_iteratorINSA_8identityIiEENSA_6detail15normal_iteratorINSA_10device_ptrIiEEEESC_SC_EENS0_5tupleIJSM_S6_EEENSO_IJSE_SE_EEES6_PlJS6_EEE10hipError_tPvRmT3_T4_T5_T6_T7_T9_mT8_P12ihipStream_tbDpT10_ENKUlT_T0_E_clISt17integral_constantIbLb1EES1B_EEDaS16_S17_EUlS16_E_NS1_11comp_targetILNS1_3genE3ELNS1_11target_archE908ELNS1_3gpuE7ELNS1_3repE0EEENS1_30default_config_static_selectorELNS0_4arch9wavefront6targetE0EEEvT1_
	.globl	_ZN7rocprim17ROCPRIM_400000_NS6detail17trampoline_kernelINS0_14default_configENS1_25partition_config_selectorILNS1_17partition_subalgoE5EiNS0_10empty_typeEbEEZZNS1_14partition_implILS5_5ELb0ES3_mN6thrust23THRUST_200600_302600_NS17counting_iteratorIiNSA_11use_defaultESC_SC_EEPS6_NSA_18transform_iteratorINSA_8identityIiEENSA_6detail15normal_iteratorINSA_10device_ptrIiEEEESC_SC_EENS0_5tupleIJSM_S6_EEENSO_IJSE_SE_EEES6_PlJS6_EEE10hipError_tPvRmT3_T4_T5_T6_T7_T9_mT8_P12ihipStream_tbDpT10_ENKUlT_T0_E_clISt17integral_constantIbLb1EES1B_EEDaS16_S17_EUlS16_E_NS1_11comp_targetILNS1_3genE3ELNS1_11target_archE908ELNS1_3gpuE7ELNS1_3repE0EEENS1_30default_config_static_selectorELNS0_4arch9wavefront6targetE0EEEvT1_
	.p2align	8
	.type	_ZN7rocprim17ROCPRIM_400000_NS6detail17trampoline_kernelINS0_14default_configENS1_25partition_config_selectorILNS1_17partition_subalgoE5EiNS0_10empty_typeEbEEZZNS1_14partition_implILS5_5ELb0ES3_mN6thrust23THRUST_200600_302600_NS17counting_iteratorIiNSA_11use_defaultESC_SC_EEPS6_NSA_18transform_iteratorINSA_8identityIiEENSA_6detail15normal_iteratorINSA_10device_ptrIiEEEESC_SC_EENS0_5tupleIJSM_S6_EEENSO_IJSE_SE_EEES6_PlJS6_EEE10hipError_tPvRmT3_T4_T5_T6_T7_T9_mT8_P12ihipStream_tbDpT10_ENKUlT_T0_E_clISt17integral_constantIbLb1EES1B_EEDaS16_S17_EUlS16_E_NS1_11comp_targetILNS1_3genE3ELNS1_11target_archE908ELNS1_3gpuE7ELNS1_3repE0EEENS1_30default_config_static_selectorELNS0_4arch9wavefront6targetE0EEEvT1_,@function
_ZN7rocprim17ROCPRIM_400000_NS6detail17trampoline_kernelINS0_14default_configENS1_25partition_config_selectorILNS1_17partition_subalgoE5EiNS0_10empty_typeEbEEZZNS1_14partition_implILS5_5ELb0ES3_mN6thrust23THRUST_200600_302600_NS17counting_iteratorIiNSA_11use_defaultESC_SC_EEPS6_NSA_18transform_iteratorINSA_8identityIiEENSA_6detail15normal_iteratorINSA_10device_ptrIiEEEESC_SC_EENS0_5tupleIJSM_S6_EEENSO_IJSE_SE_EEES6_PlJS6_EEE10hipError_tPvRmT3_T4_T5_T6_T7_T9_mT8_P12ihipStream_tbDpT10_ENKUlT_T0_E_clISt17integral_constantIbLb1EES1B_EEDaS16_S17_EUlS16_E_NS1_11comp_targetILNS1_3genE3ELNS1_11target_archE908ELNS1_3gpuE7ELNS1_3repE0EEENS1_30default_config_static_selectorELNS0_4arch9wavefront6targetE0EEEvT1_: ; @_ZN7rocprim17ROCPRIM_400000_NS6detail17trampoline_kernelINS0_14default_configENS1_25partition_config_selectorILNS1_17partition_subalgoE5EiNS0_10empty_typeEbEEZZNS1_14partition_implILS5_5ELb0ES3_mN6thrust23THRUST_200600_302600_NS17counting_iteratorIiNSA_11use_defaultESC_SC_EEPS6_NSA_18transform_iteratorINSA_8identityIiEENSA_6detail15normal_iteratorINSA_10device_ptrIiEEEESC_SC_EENS0_5tupleIJSM_S6_EEENSO_IJSE_SE_EEES6_PlJS6_EEE10hipError_tPvRmT3_T4_T5_T6_T7_T9_mT8_P12ihipStream_tbDpT10_ENKUlT_T0_E_clISt17integral_constantIbLb1EES1B_EEDaS16_S17_EUlS16_E_NS1_11comp_targetILNS1_3genE3ELNS1_11target_archE908ELNS1_3gpuE7ELNS1_3repE0EEENS1_30default_config_static_selectorELNS0_4arch9wavefront6targetE0EEEvT1_
; %bb.0:
	.section	.rodata,"a",@progbits
	.p2align	6, 0x0
	.amdhsa_kernel _ZN7rocprim17ROCPRIM_400000_NS6detail17trampoline_kernelINS0_14default_configENS1_25partition_config_selectorILNS1_17partition_subalgoE5EiNS0_10empty_typeEbEEZZNS1_14partition_implILS5_5ELb0ES3_mN6thrust23THRUST_200600_302600_NS17counting_iteratorIiNSA_11use_defaultESC_SC_EEPS6_NSA_18transform_iteratorINSA_8identityIiEENSA_6detail15normal_iteratorINSA_10device_ptrIiEEEESC_SC_EENS0_5tupleIJSM_S6_EEENSO_IJSE_SE_EEES6_PlJS6_EEE10hipError_tPvRmT3_T4_T5_T6_T7_T9_mT8_P12ihipStream_tbDpT10_ENKUlT_T0_E_clISt17integral_constantIbLb1EES1B_EEDaS16_S17_EUlS16_E_NS1_11comp_targetILNS1_3genE3ELNS1_11target_archE908ELNS1_3gpuE7ELNS1_3repE0EEENS1_30default_config_static_selectorELNS0_4arch9wavefront6targetE0EEEvT1_
		.amdhsa_group_segment_fixed_size 0
		.amdhsa_private_segment_fixed_size 0
		.amdhsa_kernarg_size 136
		.amdhsa_user_sgpr_count 2
		.amdhsa_user_sgpr_dispatch_ptr 0
		.amdhsa_user_sgpr_queue_ptr 0
		.amdhsa_user_sgpr_kernarg_segment_ptr 1
		.amdhsa_user_sgpr_dispatch_id 0
		.amdhsa_user_sgpr_private_segment_size 0
		.amdhsa_wavefront_size32 1
		.amdhsa_uses_dynamic_stack 0
		.amdhsa_enable_private_segment 0
		.amdhsa_system_sgpr_workgroup_id_x 1
		.amdhsa_system_sgpr_workgroup_id_y 0
		.amdhsa_system_sgpr_workgroup_id_z 0
		.amdhsa_system_sgpr_workgroup_info 0
		.amdhsa_system_vgpr_workitem_id 0
		.amdhsa_next_free_vgpr 1
		.amdhsa_next_free_sgpr 1
		.amdhsa_reserve_vcc 0
		.amdhsa_float_round_mode_32 0
		.amdhsa_float_round_mode_16_64 0
		.amdhsa_float_denorm_mode_32 3
		.amdhsa_float_denorm_mode_16_64 3
		.amdhsa_fp16_overflow 0
		.amdhsa_workgroup_processor_mode 1
		.amdhsa_memory_ordered 1
		.amdhsa_forward_progress 1
		.amdhsa_inst_pref_size 0
		.amdhsa_round_robin_scheduling 0
		.amdhsa_exception_fp_ieee_invalid_op 0
		.amdhsa_exception_fp_denorm_src 0
		.amdhsa_exception_fp_ieee_div_zero 0
		.amdhsa_exception_fp_ieee_overflow 0
		.amdhsa_exception_fp_ieee_underflow 0
		.amdhsa_exception_fp_ieee_inexact 0
		.amdhsa_exception_int_div_zero 0
	.end_amdhsa_kernel
	.section	.text._ZN7rocprim17ROCPRIM_400000_NS6detail17trampoline_kernelINS0_14default_configENS1_25partition_config_selectorILNS1_17partition_subalgoE5EiNS0_10empty_typeEbEEZZNS1_14partition_implILS5_5ELb0ES3_mN6thrust23THRUST_200600_302600_NS17counting_iteratorIiNSA_11use_defaultESC_SC_EEPS6_NSA_18transform_iteratorINSA_8identityIiEENSA_6detail15normal_iteratorINSA_10device_ptrIiEEEESC_SC_EENS0_5tupleIJSM_S6_EEENSO_IJSE_SE_EEES6_PlJS6_EEE10hipError_tPvRmT3_T4_T5_T6_T7_T9_mT8_P12ihipStream_tbDpT10_ENKUlT_T0_E_clISt17integral_constantIbLb1EES1B_EEDaS16_S17_EUlS16_E_NS1_11comp_targetILNS1_3genE3ELNS1_11target_archE908ELNS1_3gpuE7ELNS1_3repE0EEENS1_30default_config_static_selectorELNS0_4arch9wavefront6targetE0EEEvT1_,"axG",@progbits,_ZN7rocprim17ROCPRIM_400000_NS6detail17trampoline_kernelINS0_14default_configENS1_25partition_config_selectorILNS1_17partition_subalgoE5EiNS0_10empty_typeEbEEZZNS1_14partition_implILS5_5ELb0ES3_mN6thrust23THRUST_200600_302600_NS17counting_iteratorIiNSA_11use_defaultESC_SC_EEPS6_NSA_18transform_iteratorINSA_8identityIiEENSA_6detail15normal_iteratorINSA_10device_ptrIiEEEESC_SC_EENS0_5tupleIJSM_S6_EEENSO_IJSE_SE_EEES6_PlJS6_EEE10hipError_tPvRmT3_T4_T5_T6_T7_T9_mT8_P12ihipStream_tbDpT10_ENKUlT_T0_E_clISt17integral_constantIbLb1EES1B_EEDaS16_S17_EUlS16_E_NS1_11comp_targetILNS1_3genE3ELNS1_11target_archE908ELNS1_3gpuE7ELNS1_3repE0EEENS1_30default_config_static_selectorELNS0_4arch9wavefront6targetE0EEEvT1_,comdat
.Lfunc_end22:
	.size	_ZN7rocprim17ROCPRIM_400000_NS6detail17trampoline_kernelINS0_14default_configENS1_25partition_config_selectorILNS1_17partition_subalgoE5EiNS0_10empty_typeEbEEZZNS1_14partition_implILS5_5ELb0ES3_mN6thrust23THRUST_200600_302600_NS17counting_iteratorIiNSA_11use_defaultESC_SC_EEPS6_NSA_18transform_iteratorINSA_8identityIiEENSA_6detail15normal_iteratorINSA_10device_ptrIiEEEESC_SC_EENS0_5tupleIJSM_S6_EEENSO_IJSE_SE_EEES6_PlJS6_EEE10hipError_tPvRmT3_T4_T5_T6_T7_T9_mT8_P12ihipStream_tbDpT10_ENKUlT_T0_E_clISt17integral_constantIbLb1EES1B_EEDaS16_S17_EUlS16_E_NS1_11comp_targetILNS1_3genE3ELNS1_11target_archE908ELNS1_3gpuE7ELNS1_3repE0EEENS1_30default_config_static_selectorELNS0_4arch9wavefront6targetE0EEEvT1_, .Lfunc_end22-_ZN7rocprim17ROCPRIM_400000_NS6detail17trampoline_kernelINS0_14default_configENS1_25partition_config_selectorILNS1_17partition_subalgoE5EiNS0_10empty_typeEbEEZZNS1_14partition_implILS5_5ELb0ES3_mN6thrust23THRUST_200600_302600_NS17counting_iteratorIiNSA_11use_defaultESC_SC_EEPS6_NSA_18transform_iteratorINSA_8identityIiEENSA_6detail15normal_iteratorINSA_10device_ptrIiEEEESC_SC_EENS0_5tupleIJSM_S6_EEENSO_IJSE_SE_EEES6_PlJS6_EEE10hipError_tPvRmT3_T4_T5_T6_T7_T9_mT8_P12ihipStream_tbDpT10_ENKUlT_T0_E_clISt17integral_constantIbLb1EES1B_EEDaS16_S17_EUlS16_E_NS1_11comp_targetILNS1_3genE3ELNS1_11target_archE908ELNS1_3gpuE7ELNS1_3repE0EEENS1_30default_config_static_selectorELNS0_4arch9wavefront6targetE0EEEvT1_
                                        ; -- End function
	.set _ZN7rocprim17ROCPRIM_400000_NS6detail17trampoline_kernelINS0_14default_configENS1_25partition_config_selectorILNS1_17partition_subalgoE5EiNS0_10empty_typeEbEEZZNS1_14partition_implILS5_5ELb0ES3_mN6thrust23THRUST_200600_302600_NS17counting_iteratorIiNSA_11use_defaultESC_SC_EEPS6_NSA_18transform_iteratorINSA_8identityIiEENSA_6detail15normal_iteratorINSA_10device_ptrIiEEEESC_SC_EENS0_5tupleIJSM_S6_EEENSO_IJSE_SE_EEES6_PlJS6_EEE10hipError_tPvRmT3_T4_T5_T6_T7_T9_mT8_P12ihipStream_tbDpT10_ENKUlT_T0_E_clISt17integral_constantIbLb1EES1B_EEDaS16_S17_EUlS16_E_NS1_11comp_targetILNS1_3genE3ELNS1_11target_archE908ELNS1_3gpuE7ELNS1_3repE0EEENS1_30default_config_static_selectorELNS0_4arch9wavefront6targetE0EEEvT1_.num_vgpr, 0
	.set _ZN7rocprim17ROCPRIM_400000_NS6detail17trampoline_kernelINS0_14default_configENS1_25partition_config_selectorILNS1_17partition_subalgoE5EiNS0_10empty_typeEbEEZZNS1_14partition_implILS5_5ELb0ES3_mN6thrust23THRUST_200600_302600_NS17counting_iteratorIiNSA_11use_defaultESC_SC_EEPS6_NSA_18transform_iteratorINSA_8identityIiEENSA_6detail15normal_iteratorINSA_10device_ptrIiEEEESC_SC_EENS0_5tupleIJSM_S6_EEENSO_IJSE_SE_EEES6_PlJS6_EEE10hipError_tPvRmT3_T4_T5_T6_T7_T9_mT8_P12ihipStream_tbDpT10_ENKUlT_T0_E_clISt17integral_constantIbLb1EES1B_EEDaS16_S17_EUlS16_E_NS1_11comp_targetILNS1_3genE3ELNS1_11target_archE908ELNS1_3gpuE7ELNS1_3repE0EEENS1_30default_config_static_selectorELNS0_4arch9wavefront6targetE0EEEvT1_.num_agpr, 0
	.set _ZN7rocprim17ROCPRIM_400000_NS6detail17trampoline_kernelINS0_14default_configENS1_25partition_config_selectorILNS1_17partition_subalgoE5EiNS0_10empty_typeEbEEZZNS1_14partition_implILS5_5ELb0ES3_mN6thrust23THRUST_200600_302600_NS17counting_iteratorIiNSA_11use_defaultESC_SC_EEPS6_NSA_18transform_iteratorINSA_8identityIiEENSA_6detail15normal_iteratorINSA_10device_ptrIiEEEESC_SC_EENS0_5tupleIJSM_S6_EEENSO_IJSE_SE_EEES6_PlJS6_EEE10hipError_tPvRmT3_T4_T5_T6_T7_T9_mT8_P12ihipStream_tbDpT10_ENKUlT_T0_E_clISt17integral_constantIbLb1EES1B_EEDaS16_S17_EUlS16_E_NS1_11comp_targetILNS1_3genE3ELNS1_11target_archE908ELNS1_3gpuE7ELNS1_3repE0EEENS1_30default_config_static_selectorELNS0_4arch9wavefront6targetE0EEEvT1_.numbered_sgpr, 0
	.set _ZN7rocprim17ROCPRIM_400000_NS6detail17trampoline_kernelINS0_14default_configENS1_25partition_config_selectorILNS1_17partition_subalgoE5EiNS0_10empty_typeEbEEZZNS1_14partition_implILS5_5ELb0ES3_mN6thrust23THRUST_200600_302600_NS17counting_iteratorIiNSA_11use_defaultESC_SC_EEPS6_NSA_18transform_iteratorINSA_8identityIiEENSA_6detail15normal_iteratorINSA_10device_ptrIiEEEESC_SC_EENS0_5tupleIJSM_S6_EEENSO_IJSE_SE_EEES6_PlJS6_EEE10hipError_tPvRmT3_T4_T5_T6_T7_T9_mT8_P12ihipStream_tbDpT10_ENKUlT_T0_E_clISt17integral_constantIbLb1EES1B_EEDaS16_S17_EUlS16_E_NS1_11comp_targetILNS1_3genE3ELNS1_11target_archE908ELNS1_3gpuE7ELNS1_3repE0EEENS1_30default_config_static_selectorELNS0_4arch9wavefront6targetE0EEEvT1_.num_named_barrier, 0
	.set _ZN7rocprim17ROCPRIM_400000_NS6detail17trampoline_kernelINS0_14default_configENS1_25partition_config_selectorILNS1_17partition_subalgoE5EiNS0_10empty_typeEbEEZZNS1_14partition_implILS5_5ELb0ES3_mN6thrust23THRUST_200600_302600_NS17counting_iteratorIiNSA_11use_defaultESC_SC_EEPS6_NSA_18transform_iteratorINSA_8identityIiEENSA_6detail15normal_iteratorINSA_10device_ptrIiEEEESC_SC_EENS0_5tupleIJSM_S6_EEENSO_IJSE_SE_EEES6_PlJS6_EEE10hipError_tPvRmT3_T4_T5_T6_T7_T9_mT8_P12ihipStream_tbDpT10_ENKUlT_T0_E_clISt17integral_constantIbLb1EES1B_EEDaS16_S17_EUlS16_E_NS1_11comp_targetILNS1_3genE3ELNS1_11target_archE908ELNS1_3gpuE7ELNS1_3repE0EEENS1_30default_config_static_selectorELNS0_4arch9wavefront6targetE0EEEvT1_.private_seg_size, 0
	.set _ZN7rocprim17ROCPRIM_400000_NS6detail17trampoline_kernelINS0_14default_configENS1_25partition_config_selectorILNS1_17partition_subalgoE5EiNS0_10empty_typeEbEEZZNS1_14partition_implILS5_5ELb0ES3_mN6thrust23THRUST_200600_302600_NS17counting_iteratorIiNSA_11use_defaultESC_SC_EEPS6_NSA_18transform_iteratorINSA_8identityIiEENSA_6detail15normal_iteratorINSA_10device_ptrIiEEEESC_SC_EENS0_5tupleIJSM_S6_EEENSO_IJSE_SE_EEES6_PlJS6_EEE10hipError_tPvRmT3_T4_T5_T6_T7_T9_mT8_P12ihipStream_tbDpT10_ENKUlT_T0_E_clISt17integral_constantIbLb1EES1B_EEDaS16_S17_EUlS16_E_NS1_11comp_targetILNS1_3genE3ELNS1_11target_archE908ELNS1_3gpuE7ELNS1_3repE0EEENS1_30default_config_static_selectorELNS0_4arch9wavefront6targetE0EEEvT1_.uses_vcc, 0
	.set _ZN7rocprim17ROCPRIM_400000_NS6detail17trampoline_kernelINS0_14default_configENS1_25partition_config_selectorILNS1_17partition_subalgoE5EiNS0_10empty_typeEbEEZZNS1_14partition_implILS5_5ELb0ES3_mN6thrust23THRUST_200600_302600_NS17counting_iteratorIiNSA_11use_defaultESC_SC_EEPS6_NSA_18transform_iteratorINSA_8identityIiEENSA_6detail15normal_iteratorINSA_10device_ptrIiEEEESC_SC_EENS0_5tupleIJSM_S6_EEENSO_IJSE_SE_EEES6_PlJS6_EEE10hipError_tPvRmT3_T4_T5_T6_T7_T9_mT8_P12ihipStream_tbDpT10_ENKUlT_T0_E_clISt17integral_constantIbLb1EES1B_EEDaS16_S17_EUlS16_E_NS1_11comp_targetILNS1_3genE3ELNS1_11target_archE908ELNS1_3gpuE7ELNS1_3repE0EEENS1_30default_config_static_selectorELNS0_4arch9wavefront6targetE0EEEvT1_.uses_flat_scratch, 0
	.set _ZN7rocprim17ROCPRIM_400000_NS6detail17trampoline_kernelINS0_14default_configENS1_25partition_config_selectorILNS1_17partition_subalgoE5EiNS0_10empty_typeEbEEZZNS1_14partition_implILS5_5ELb0ES3_mN6thrust23THRUST_200600_302600_NS17counting_iteratorIiNSA_11use_defaultESC_SC_EEPS6_NSA_18transform_iteratorINSA_8identityIiEENSA_6detail15normal_iteratorINSA_10device_ptrIiEEEESC_SC_EENS0_5tupleIJSM_S6_EEENSO_IJSE_SE_EEES6_PlJS6_EEE10hipError_tPvRmT3_T4_T5_T6_T7_T9_mT8_P12ihipStream_tbDpT10_ENKUlT_T0_E_clISt17integral_constantIbLb1EES1B_EEDaS16_S17_EUlS16_E_NS1_11comp_targetILNS1_3genE3ELNS1_11target_archE908ELNS1_3gpuE7ELNS1_3repE0EEENS1_30default_config_static_selectorELNS0_4arch9wavefront6targetE0EEEvT1_.has_dyn_sized_stack, 0
	.set _ZN7rocprim17ROCPRIM_400000_NS6detail17trampoline_kernelINS0_14default_configENS1_25partition_config_selectorILNS1_17partition_subalgoE5EiNS0_10empty_typeEbEEZZNS1_14partition_implILS5_5ELb0ES3_mN6thrust23THRUST_200600_302600_NS17counting_iteratorIiNSA_11use_defaultESC_SC_EEPS6_NSA_18transform_iteratorINSA_8identityIiEENSA_6detail15normal_iteratorINSA_10device_ptrIiEEEESC_SC_EENS0_5tupleIJSM_S6_EEENSO_IJSE_SE_EEES6_PlJS6_EEE10hipError_tPvRmT3_T4_T5_T6_T7_T9_mT8_P12ihipStream_tbDpT10_ENKUlT_T0_E_clISt17integral_constantIbLb1EES1B_EEDaS16_S17_EUlS16_E_NS1_11comp_targetILNS1_3genE3ELNS1_11target_archE908ELNS1_3gpuE7ELNS1_3repE0EEENS1_30default_config_static_selectorELNS0_4arch9wavefront6targetE0EEEvT1_.has_recursion, 0
	.set _ZN7rocprim17ROCPRIM_400000_NS6detail17trampoline_kernelINS0_14default_configENS1_25partition_config_selectorILNS1_17partition_subalgoE5EiNS0_10empty_typeEbEEZZNS1_14partition_implILS5_5ELb0ES3_mN6thrust23THRUST_200600_302600_NS17counting_iteratorIiNSA_11use_defaultESC_SC_EEPS6_NSA_18transform_iteratorINSA_8identityIiEENSA_6detail15normal_iteratorINSA_10device_ptrIiEEEESC_SC_EENS0_5tupleIJSM_S6_EEENSO_IJSE_SE_EEES6_PlJS6_EEE10hipError_tPvRmT3_T4_T5_T6_T7_T9_mT8_P12ihipStream_tbDpT10_ENKUlT_T0_E_clISt17integral_constantIbLb1EES1B_EEDaS16_S17_EUlS16_E_NS1_11comp_targetILNS1_3genE3ELNS1_11target_archE908ELNS1_3gpuE7ELNS1_3repE0EEENS1_30default_config_static_selectorELNS0_4arch9wavefront6targetE0EEEvT1_.has_indirect_call, 0
	.section	.AMDGPU.csdata,"",@progbits
; Kernel info:
; codeLenInByte = 0
; TotalNumSgprs: 0
; NumVgprs: 0
; ScratchSize: 0
; MemoryBound: 0
; FloatMode: 240
; IeeeMode: 1
; LDSByteSize: 0 bytes/workgroup (compile time only)
; SGPRBlocks: 0
; VGPRBlocks: 0
; NumSGPRsForWavesPerEU: 1
; NumVGPRsForWavesPerEU: 1
; Occupancy: 16
; WaveLimiterHint : 0
; COMPUTE_PGM_RSRC2:SCRATCH_EN: 0
; COMPUTE_PGM_RSRC2:USER_SGPR: 2
; COMPUTE_PGM_RSRC2:TRAP_HANDLER: 0
; COMPUTE_PGM_RSRC2:TGID_X_EN: 1
; COMPUTE_PGM_RSRC2:TGID_Y_EN: 0
; COMPUTE_PGM_RSRC2:TGID_Z_EN: 0
; COMPUTE_PGM_RSRC2:TIDIG_COMP_CNT: 0
	.section	.text._ZN7rocprim17ROCPRIM_400000_NS6detail17trampoline_kernelINS0_14default_configENS1_25partition_config_selectorILNS1_17partition_subalgoE5EiNS0_10empty_typeEbEEZZNS1_14partition_implILS5_5ELb0ES3_mN6thrust23THRUST_200600_302600_NS17counting_iteratorIiNSA_11use_defaultESC_SC_EEPS6_NSA_18transform_iteratorINSA_8identityIiEENSA_6detail15normal_iteratorINSA_10device_ptrIiEEEESC_SC_EENS0_5tupleIJSM_S6_EEENSO_IJSE_SE_EEES6_PlJS6_EEE10hipError_tPvRmT3_T4_T5_T6_T7_T9_mT8_P12ihipStream_tbDpT10_ENKUlT_T0_E_clISt17integral_constantIbLb1EES1B_EEDaS16_S17_EUlS16_E_NS1_11comp_targetILNS1_3genE2ELNS1_11target_archE906ELNS1_3gpuE6ELNS1_3repE0EEENS1_30default_config_static_selectorELNS0_4arch9wavefront6targetE0EEEvT1_,"axG",@progbits,_ZN7rocprim17ROCPRIM_400000_NS6detail17trampoline_kernelINS0_14default_configENS1_25partition_config_selectorILNS1_17partition_subalgoE5EiNS0_10empty_typeEbEEZZNS1_14partition_implILS5_5ELb0ES3_mN6thrust23THRUST_200600_302600_NS17counting_iteratorIiNSA_11use_defaultESC_SC_EEPS6_NSA_18transform_iteratorINSA_8identityIiEENSA_6detail15normal_iteratorINSA_10device_ptrIiEEEESC_SC_EENS0_5tupleIJSM_S6_EEENSO_IJSE_SE_EEES6_PlJS6_EEE10hipError_tPvRmT3_T4_T5_T6_T7_T9_mT8_P12ihipStream_tbDpT10_ENKUlT_T0_E_clISt17integral_constantIbLb1EES1B_EEDaS16_S17_EUlS16_E_NS1_11comp_targetILNS1_3genE2ELNS1_11target_archE906ELNS1_3gpuE6ELNS1_3repE0EEENS1_30default_config_static_selectorELNS0_4arch9wavefront6targetE0EEEvT1_,comdat
	.protected	_ZN7rocprim17ROCPRIM_400000_NS6detail17trampoline_kernelINS0_14default_configENS1_25partition_config_selectorILNS1_17partition_subalgoE5EiNS0_10empty_typeEbEEZZNS1_14partition_implILS5_5ELb0ES3_mN6thrust23THRUST_200600_302600_NS17counting_iteratorIiNSA_11use_defaultESC_SC_EEPS6_NSA_18transform_iteratorINSA_8identityIiEENSA_6detail15normal_iteratorINSA_10device_ptrIiEEEESC_SC_EENS0_5tupleIJSM_S6_EEENSO_IJSE_SE_EEES6_PlJS6_EEE10hipError_tPvRmT3_T4_T5_T6_T7_T9_mT8_P12ihipStream_tbDpT10_ENKUlT_T0_E_clISt17integral_constantIbLb1EES1B_EEDaS16_S17_EUlS16_E_NS1_11comp_targetILNS1_3genE2ELNS1_11target_archE906ELNS1_3gpuE6ELNS1_3repE0EEENS1_30default_config_static_selectorELNS0_4arch9wavefront6targetE0EEEvT1_ ; -- Begin function _ZN7rocprim17ROCPRIM_400000_NS6detail17trampoline_kernelINS0_14default_configENS1_25partition_config_selectorILNS1_17partition_subalgoE5EiNS0_10empty_typeEbEEZZNS1_14partition_implILS5_5ELb0ES3_mN6thrust23THRUST_200600_302600_NS17counting_iteratorIiNSA_11use_defaultESC_SC_EEPS6_NSA_18transform_iteratorINSA_8identityIiEENSA_6detail15normal_iteratorINSA_10device_ptrIiEEEESC_SC_EENS0_5tupleIJSM_S6_EEENSO_IJSE_SE_EEES6_PlJS6_EEE10hipError_tPvRmT3_T4_T5_T6_T7_T9_mT8_P12ihipStream_tbDpT10_ENKUlT_T0_E_clISt17integral_constantIbLb1EES1B_EEDaS16_S17_EUlS16_E_NS1_11comp_targetILNS1_3genE2ELNS1_11target_archE906ELNS1_3gpuE6ELNS1_3repE0EEENS1_30default_config_static_selectorELNS0_4arch9wavefront6targetE0EEEvT1_
	.globl	_ZN7rocprim17ROCPRIM_400000_NS6detail17trampoline_kernelINS0_14default_configENS1_25partition_config_selectorILNS1_17partition_subalgoE5EiNS0_10empty_typeEbEEZZNS1_14partition_implILS5_5ELb0ES3_mN6thrust23THRUST_200600_302600_NS17counting_iteratorIiNSA_11use_defaultESC_SC_EEPS6_NSA_18transform_iteratorINSA_8identityIiEENSA_6detail15normal_iteratorINSA_10device_ptrIiEEEESC_SC_EENS0_5tupleIJSM_S6_EEENSO_IJSE_SE_EEES6_PlJS6_EEE10hipError_tPvRmT3_T4_T5_T6_T7_T9_mT8_P12ihipStream_tbDpT10_ENKUlT_T0_E_clISt17integral_constantIbLb1EES1B_EEDaS16_S17_EUlS16_E_NS1_11comp_targetILNS1_3genE2ELNS1_11target_archE906ELNS1_3gpuE6ELNS1_3repE0EEENS1_30default_config_static_selectorELNS0_4arch9wavefront6targetE0EEEvT1_
	.p2align	8
	.type	_ZN7rocprim17ROCPRIM_400000_NS6detail17trampoline_kernelINS0_14default_configENS1_25partition_config_selectorILNS1_17partition_subalgoE5EiNS0_10empty_typeEbEEZZNS1_14partition_implILS5_5ELb0ES3_mN6thrust23THRUST_200600_302600_NS17counting_iteratorIiNSA_11use_defaultESC_SC_EEPS6_NSA_18transform_iteratorINSA_8identityIiEENSA_6detail15normal_iteratorINSA_10device_ptrIiEEEESC_SC_EENS0_5tupleIJSM_S6_EEENSO_IJSE_SE_EEES6_PlJS6_EEE10hipError_tPvRmT3_T4_T5_T6_T7_T9_mT8_P12ihipStream_tbDpT10_ENKUlT_T0_E_clISt17integral_constantIbLb1EES1B_EEDaS16_S17_EUlS16_E_NS1_11comp_targetILNS1_3genE2ELNS1_11target_archE906ELNS1_3gpuE6ELNS1_3repE0EEENS1_30default_config_static_selectorELNS0_4arch9wavefront6targetE0EEEvT1_,@function
_ZN7rocprim17ROCPRIM_400000_NS6detail17trampoline_kernelINS0_14default_configENS1_25partition_config_selectorILNS1_17partition_subalgoE5EiNS0_10empty_typeEbEEZZNS1_14partition_implILS5_5ELb0ES3_mN6thrust23THRUST_200600_302600_NS17counting_iteratorIiNSA_11use_defaultESC_SC_EEPS6_NSA_18transform_iteratorINSA_8identityIiEENSA_6detail15normal_iteratorINSA_10device_ptrIiEEEESC_SC_EENS0_5tupleIJSM_S6_EEENSO_IJSE_SE_EEES6_PlJS6_EEE10hipError_tPvRmT3_T4_T5_T6_T7_T9_mT8_P12ihipStream_tbDpT10_ENKUlT_T0_E_clISt17integral_constantIbLb1EES1B_EEDaS16_S17_EUlS16_E_NS1_11comp_targetILNS1_3genE2ELNS1_11target_archE906ELNS1_3gpuE6ELNS1_3repE0EEENS1_30default_config_static_selectorELNS0_4arch9wavefront6targetE0EEEvT1_: ; @_ZN7rocprim17ROCPRIM_400000_NS6detail17trampoline_kernelINS0_14default_configENS1_25partition_config_selectorILNS1_17partition_subalgoE5EiNS0_10empty_typeEbEEZZNS1_14partition_implILS5_5ELb0ES3_mN6thrust23THRUST_200600_302600_NS17counting_iteratorIiNSA_11use_defaultESC_SC_EEPS6_NSA_18transform_iteratorINSA_8identityIiEENSA_6detail15normal_iteratorINSA_10device_ptrIiEEEESC_SC_EENS0_5tupleIJSM_S6_EEENSO_IJSE_SE_EEES6_PlJS6_EEE10hipError_tPvRmT3_T4_T5_T6_T7_T9_mT8_P12ihipStream_tbDpT10_ENKUlT_T0_E_clISt17integral_constantIbLb1EES1B_EEDaS16_S17_EUlS16_E_NS1_11comp_targetILNS1_3genE2ELNS1_11target_archE906ELNS1_3gpuE6ELNS1_3repE0EEENS1_30default_config_static_selectorELNS0_4arch9wavefront6targetE0EEEvT1_
; %bb.0:
	.section	.rodata,"a",@progbits
	.p2align	6, 0x0
	.amdhsa_kernel _ZN7rocprim17ROCPRIM_400000_NS6detail17trampoline_kernelINS0_14default_configENS1_25partition_config_selectorILNS1_17partition_subalgoE5EiNS0_10empty_typeEbEEZZNS1_14partition_implILS5_5ELb0ES3_mN6thrust23THRUST_200600_302600_NS17counting_iteratorIiNSA_11use_defaultESC_SC_EEPS6_NSA_18transform_iteratorINSA_8identityIiEENSA_6detail15normal_iteratorINSA_10device_ptrIiEEEESC_SC_EENS0_5tupleIJSM_S6_EEENSO_IJSE_SE_EEES6_PlJS6_EEE10hipError_tPvRmT3_T4_T5_T6_T7_T9_mT8_P12ihipStream_tbDpT10_ENKUlT_T0_E_clISt17integral_constantIbLb1EES1B_EEDaS16_S17_EUlS16_E_NS1_11comp_targetILNS1_3genE2ELNS1_11target_archE906ELNS1_3gpuE6ELNS1_3repE0EEENS1_30default_config_static_selectorELNS0_4arch9wavefront6targetE0EEEvT1_
		.amdhsa_group_segment_fixed_size 0
		.amdhsa_private_segment_fixed_size 0
		.amdhsa_kernarg_size 136
		.amdhsa_user_sgpr_count 2
		.amdhsa_user_sgpr_dispatch_ptr 0
		.amdhsa_user_sgpr_queue_ptr 0
		.amdhsa_user_sgpr_kernarg_segment_ptr 1
		.amdhsa_user_sgpr_dispatch_id 0
		.amdhsa_user_sgpr_private_segment_size 0
		.amdhsa_wavefront_size32 1
		.amdhsa_uses_dynamic_stack 0
		.amdhsa_enable_private_segment 0
		.amdhsa_system_sgpr_workgroup_id_x 1
		.amdhsa_system_sgpr_workgroup_id_y 0
		.amdhsa_system_sgpr_workgroup_id_z 0
		.amdhsa_system_sgpr_workgroup_info 0
		.amdhsa_system_vgpr_workitem_id 0
		.amdhsa_next_free_vgpr 1
		.amdhsa_next_free_sgpr 1
		.amdhsa_reserve_vcc 0
		.amdhsa_float_round_mode_32 0
		.amdhsa_float_round_mode_16_64 0
		.amdhsa_float_denorm_mode_32 3
		.amdhsa_float_denorm_mode_16_64 3
		.amdhsa_fp16_overflow 0
		.amdhsa_workgroup_processor_mode 1
		.amdhsa_memory_ordered 1
		.amdhsa_forward_progress 1
		.amdhsa_inst_pref_size 0
		.amdhsa_round_robin_scheduling 0
		.amdhsa_exception_fp_ieee_invalid_op 0
		.amdhsa_exception_fp_denorm_src 0
		.amdhsa_exception_fp_ieee_div_zero 0
		.amdhsa_exception_fp_ieee_overflow 0
		.amdhsa_exception_fp_ieee_underflow 0
		.amdhsa_exception_fp_ieee_inexact 0
		.amdhsa_exception_int_div_zero 0
	.end_amdhsa_kernel
	.section	.text._ZN7rocprim17ROCPRIM_400000_NS6detail17trampoline_kernelINS0_14default_configENS1_25partition_config_selectorILNS1_17partition_subalgoE5EiNS0_10empty_typeEbEEZZNS1_14partition_implILS5_5ELb0ES3_mN6thrust23THRUST_200600_302600_NS17counting_iteratorIiNSA_11use_defaultESC_SC_EEPS6_NSA_18transform_iteratorINSA_8identityIiEENSA_6detail15normal_iteratorINSA_10device_ptrIiEEEESC_SC_EENS0_5tupleIJSM_S6_EEENSO_IJSE_SE_EEES6_PlJS6_EEE10hipError_tPvRmT3_T4_T5_T6_T7_T9_mT8_P12ihipStream_tbDpT10_ENKUlT_T0_E_clISt17integral_constantIbLb1EES1B_EEDaS16_S17_EUlS16_E_NS1_11comp_targetILNS1_3genE2ELNS1_11target_archE906ELNS1_3gpuE6ELNS1_3repE0EEENS1_30default_config_static_selectorELNS0_4arch9wavefront6targetE0EEEvT1_,"axG",@progbits,_ZN7rocprim17ROCPRIM_400000_NS6detail17trampoline_kernelINS0_14default_configENS1_25partition_config_selectorILNS1_17partition_subalgoE5EiNS0_10empty_typeEbEEZZNS1_14partition_implILS5_5ELb0ES3_mN6thrust23THRUST_200600_302600_NS17counting_iteratorIiNSA_11use_defaultESC_SC_EEPS6_NSA_18transform_iteratorINSA_8identityIiEENSA_6detail15normal_iteratorINSA_10device_ptrIiEEEESC_SC_EENS0_5tupleIJSM_S6_EEENSO_IJSE_SE_EEES6_PlJS6_EEE10hipError_tPvRmT3_T4_T5_T6_T7_T9_mT8_P12ihipStream_tbDpT10_ENKUlT_T0_E_clISt17integral_constantIbLb1EES1B_EEDaS16_S17_EUlS16_E_NS1_11comp_targetILNS1_3genE2ELNS1_11target_archE906ELNS1_3gpuE6ELNS1_3repE0EEENS1_30default_config_static_selectorELNS0_4arch9wavefront6targetE0EEEvT1_,comdat
.Lfunc_end23:
	.size	_ZN7rocprim17ROCPRIM_400000_NS6detail17trampoline_kernelINS0_14default_configENS1_25partition_config_selectorILNS1_17partition_subalgoE5EiNS0_10empty_typeEbEEZZNS1_14partition_implILS5_5ELb0ES3_mN6thrust23THRUST_200600_302600_NS17counting_iteratorIiNSA_11use_defaultESC_SC_EEPS6_NSA_18transform_iteratorINSA_8identityIiEENSA_6detail15normal_iteratorINSA_10device_ptrIiEEEESC_SC_EENS0_5tupleIJSM_S6_EEENSO_IJSE_SE_EEES6_PlJS6_EEE10hipError_tPvRmT3_T4_T5_T6_T7_T9_mT8_P12ihipStream_tbDpT10_ENKUlT_T0_E_clISt17integral_constantIbLb1EES1B_EEDaS16_S17_EUlS16_E_NS1_11comp_targetILNS1_3genE2ELNS1_11target_archE906ELNS1_3gpuE6ELNS1_3repE0EEENS1_30default_config_static_selectorELNS0_4arch9wavefront6targetE0EEEvT1_, .Lfunc_end23-_ZN7rocprim17ROCPRIM_400000_NS6detail17trampoline_kernelINS0_14default_configENS1_25partition_config_selectorILNS1_17partition_subalgoE5EiNS0_10empty_typeEbEEZZNS1_14partition_implILS5_5ELb0ES3_mN6thrust23THRUST_200600_302600_NS17counting_iteratorIiNSA_11use_defaultESC_SC_EEPS6_NSA_18transform_iteratorINSA_8identityIiEENSA_6detail15normal_iteratorINSA_10device_ptrIiEEEESC_SC_EENS0_5tupleIJSM_S6_EEENSO_IJSE_SE_EEES6_PlJS6_EEE10hipError_tPvRmT3_T4_T5_T6_T7_T9_mT8_P12ihipStream_tbDpT10_ENKUlT_T0_E_clISt17integral_constantIbLb1EES1B_EEDaS16_S17_EUlS16_E_NS1_11comp_targetILNS1_3genE2ELNS1_11target_archE906ELNS1_3gpuE6ELNS1_3repE0EEENS1_30default_config_static_selectorELNS0_4arch9wavefront6targetE0EEEvT1_
                                        ; -- End function
	.set _ZN7rocprim17ROCPRIM_400000_NS6detail17trampoline_kernelINS0_14default_configENS1_25partition_config_selectorILNS1_17partition_subalgoE5EiNS0_10empty_typeEbEEZZNS1_14partition_implILS5_5ELb0ES3_mN6thrust23THRUST_200600_302600_NS17counting_iteratorIiNSA_11use_defaultESC_SC_EEPS6_NSA_18transform_iteratorINSA_8identityIiEENSA_6detail15normal_iteratorINSA_10device_ptrIiEEEESC_SC_EENS0_5tupleIJSM_S6_EEENSO_IJSE_SE_EEES6_PlJS6_EEE10hipError_tPvRmT3_T4_T5_T6_T7_T9_mT8_P12ihipStream_tbDpT10_ENKUlT_T0_E_clISt17integral_constantIbLb1EES1B_EEDaS16_S17_EUlS16_E_NS1_11comp_targetILNS1_3genE2ELNS1_11target_archE906ELNS1_3gpuE6ELNS1_3repE0EEENS1_30default_config_static_selectorELNS0_4arch9wavefront6targetE0EEEvT1_.num_vgpr, 0
	.set _ZN7rocprim17ROCPRIM_400000_NS6detail17trampoline_kernelINS0_14default_configENS1_25partition_config_selectorILNS1_17partition_subalgoE5EiNS0_10empty_typeEbEEZZNS1_14partition_implILS5_5ELb0ES3_mN6thrust23THRUST_200600_302600_NS17counting_iteratorIiNSA_11use_defaultESC_SC_EEPS6_NSA_18transform_iteratorINSA_8identityIiEENSA_6detail15normal_iteratorINSA_10device_ptrIiEEEESC_SC_EENS0_5tupleIJSM_S6_EEENSO_IJSE_SE_EEES6_PlJS6_EEE10hipError_tPvRmT3_T4_T5_T6_T7_T9_mT8_P12ihipStream_tbDpT10_ENKUlT_T0_E_clISt17integral_constantIbLb1EES1B_EEDaS16_S17_EUlS16_E_NS1_11comp_targetILNS1_3genE2ELNS1_11target_archE906ELNS1_3gpuE6ELNS1_3repE0EEENS1_30default_config_static_selectorELNS0_4arch9wavefront6targetE0EEEvT1_.num_agpr, 0
	.set _ZN7rocprim17ROCPRIM_400000_NS6detail17trampoline_kernelINS0_14default_configENS1_25partition_config_selectorILNS1_17partition_subalgoE5EiNS0_10empty_typeEbEEZZNS1_14partition_implILS5_5ELb0ES3_mN6thrust23THRUST_200600_302600_NS17counting_iteratorIiNSA_11use_defaultESC_SC_EEPS6_NSA_18transform_iteratorINSA_8identityIiEENSA_6detail15normal_iteratorINSA_10device_ptrIiEEEESC_SC_EENS0_5tupleIJSM_S6_EEENSO_IJSE_SE_EEES6_PlJS6_EEE10hipError_tPvRmT3_T4_T5_T6_T7_T9_mT8_P12ihipStream_tbDpT10_ENKUlT_T0_E_clISt17integral_constantIbLb1EES1B_EEDaS16_S17_EUlS16_E_NS1_11comp_targetILNS1_3genE2ELNS1_11target_archE906ELNS1_3gpuE6ELNS1_3repE0EEENS1_30default_config_static_selectorELNS0_4arch9wavefront6targetE0EEEvT1_.numbered_sgpr, 0
	.set _ZN7rocprim17ROCPRIM_400000_NS6detail17trampoline_kernelINS0_14default_configENS1_25partition_config_selectorILNS1_17partition_subalgoE5EiNS0_10empty_typeEbEEZZNS1_14partition_implILS5_5ELb0ES3_mN6thrust23THRUST_200600_302600_NS17counting_iteratorIiNSA_11use_defaultESC_SC_EEPS6_NSA_18transform_iteratorINSA_8identityIiEENSA_6detail15normal_iteratorINSA_10device_ptrIiEEEESC_SC_EENS0_5tupleIJSM_S6_EEENSO_IJSE_SE_EEES6_PlJS6_EEE10hipError_tPvRmT3_T4_T5_T6_T7_T9_mT8_P12ihipStream_tbDpT10_ENKUlT_T0_E_clISt17integral_constantIbLb1EES1B_EEDaS16_S17_EUlS16_E_NS1_11comp_targetILNS1_3genE2ELNS1_11target_archE906ELNS1_3gpuE6ELNS1_3repE0EEENS1_30default_config_static_selectorELNS0_4arch9wavefront6targetE0EEEvT1_.num_named_barrier, 0
	.set _ZN7rocprim17ROCPRIM_400000_NS6detail17trampoline_kernelINS0_14default_configENS1_25partition_config_selectorILNS1_17partition_subalgoE5EiNS0_10empty_typeEbEEZZNS1_14partition_implILS5_5ELb0ES3_mN6thrust23THRUST_200600_302600_NS17counting_iteratorIiNSA_11use_defaultESC_SC_EEPS6_NSA_18transform_iteratorINSA_8identityIiEENSA_6detail15normal_iteratorINSA_10device_ptrIiEEEESC_SC_EENS0_5tupleIJSM_S6_EEENSO_IJSE_SE_EEES6_PlJS6_EEE10hipError_tPvRmT3_T4_T5_T6_T7_T9_mT8_P12ihipStream_tbDpT10_ENKUlT_T0_E_clISt17integral_constantIbLb1EES1B_EEDaS16_S17_EUlS16_E_NS1_11comp_targetILNS1_3genE2ELNS1_11target_archE906ELNS1_3gpuE6ELNS1_3repE0EEENS1_30default_config_static_selectorELNS0_4arch9wavefront6targetE0EEEvT1_.private_seg_size, 0
	.set _ZN7rocprim17ROCPRIM_400000_NS6detail17trampoline_kernelINS0_14default_configENS1_25partition_config_selectorILNS1_17partition_subalgoE5EiNS0_10empty_typeEbEEZZNS1_14partition_implILS5_5ELb0ES3_mN6thrust23THRUST_200600_302600_NS17counting_iteratorIiNSA_11use_defaultESC_SC_EEPS6_NSA_18transform_iteratorINSA_8identityIiEENSA_6detail15normal_iteratorINSA_10device_ptrIiEEEESC_SC_EENS0_5tupleIJSM_S6_EEENSO_IJSE_SE_EEES6_PlJS6_EEE10hipError_tPvRmT3_T4_T5_T6_T7_T9_mT8_P12ihipStream_tbDpT10_ENKUlT_T0_E_clISt17integral_constantIbLb1EES1B_EEDaS16_S17_EUlS16_E_NS1_11comp_targetILNS1_3genE2ELNS1_11target_archE906ELNS1_3gpuE6ELNS1_3repE0EEENS1_30default_config_static_selectorELNS0_4arch9wavefront6targetE0EEEvT1_.uses_vcc, 0
	.set _ZN7rocprim17ROCPRIM_400000_NS6detail17trampoline_kernelINS0_14default_configENS1_25partition_config_selectorILNS1_17partition_subalgoE5EiNS0_10empty_typeEbEEZZNS1_14partition_implILS5_5ELb0ES3_mN6thrust23THRUST_200600_302600_NS17counting_iteratorIiNSA_11use_defaultESC_SC_EEPS6_NSA_18transform_iteratorINSA_8identityIiEENSA_6detail15normal_iteratorINSA_10device_ptrIiEEEESC_SC_EENS0_5tupleIJSM_S6_EEENSO_IJSE_SE_EEES6_PlJS6_EEE10hipError_tPvRmT3_T4_T5_T6_T7_T9_mT8_P12ihipStream_tbDpT10_ENKUlT_T0_E_clISt17integral_constantIbLb1EES1B_EEDaS16_S17_EUlS16_E_NS1_11comp_targetILNS1_3genE2ELNS1_11target_archE906ELNS1_3gpuE6ELNS1_3repE0EEENS1_30default_config_static_selectorELNS0_4arch9wavefront6targetE0EEEvT1_.uses_flat_scratch, 0
	.set _ZN7rocprim17ROCPRIM_400000_NS6detail17trampoline_kernelINS0_14default_configENS1_25partition_config_selectorILNS1_17partition_subalgoE5EiNS0_10empty_typeEbEEZZNS1_14partition_implILS5_5ELb0ES3_mN6thrust23THRUST_200600_302600_NS17counting_iteratorIiNSA_11use_defaultESC_SC_EEPS6_NSA_18transform_iteratorINSA_8identityIiEENSA_6detail15normal_iteratorINSA_10device_ptrIiEEEESC_SC_EENS0_5tupleIJSM_S6_EEENSO_IJSE_SE_EEES6_PlJS6_EEE10hipError_tPvRmT3_T4_T5_T6_T7_T9_mT8_P12ihipStream_tbDpT10_ENKUlT_T0_E_clISt17integral_constantIbLb1EES1B_EEDaS16_S17_EUlS16_E_NS1_11comp_targetILNS1_3genE2ELNS1_11target_archE906ELNS1_3gpuE6ELNS1_3repE0EEENS1_30default_config_static_selectorELNS0_4arch9wavefront6targetE0EEEvT1_.has_dyn_sized_stack, 0
	.set _ZN7rocprim17ROCPRIM_400000_NS6detail17trampoline_kernelINS0_14default_configENS1_25partition_config_selectorILNS1_17partition_subalgoE5EiNS0_10empty_typeEbEEZZNS1_14partition_implILS5_5ELb0ES3_mN6thrust23THRUST_200600_302600_NS17counting_iteratorIiNSA_11use_defaultESC_SC_EEPS6_NSA_18transform_iteratorINSA_8identityIiEENSA_6detail15normal_iteratorINSA_10device_ptrIiEEEESC_SC_EENS0_5tupleIJSM_S6_EEENSO_IJSE_SE_EEES6_PlJS6_EEE10hipError_tPvRmT3_T4_T5_T6_T7_T9_mT8_P12ihipStream_tbDpT10_ENKUlT_T0_E_clISt17integral_constantIbLb1EES1B_EEDaS16_S17_EUlS16_E_NS1_11comp_targetILNS1_3genE2ELNS1_11target_archE906ELNS1_3gpuE6ELNS1_3repE0EEENS1_30default_config_static_selectorELNS0_4arch9wavefront6targetE0EEEvT1_.has_recursion, 0
	.set _ZN7rocprim17ROCPRIM_400000_NS6detail17trampoline_kernelINS0_14default_configENS1_25partition_config_selectorILNS1_17partition_subalgoE5EiNS0_10empty_typeEbEEZZNS1_14partition_implILS5_5ELb0ES3_mN6thrust23THRUST_200600_302600_NS17counting_iteratorIiNSA_11use_defaultESC_SC_EEPS6_NSA_18transform_iteratorINSA_8identityIiEENSA_6detail15normal_iteratorINSA_10device_ptrIiEEEESC_SC_EENS0_5tupleIJSM_S6_EEENSO_IJSE_SE_EEES6_PlJS6_EEE10hipError_tPvRmT3_T4_T5_T6_T7_T9_mT8_P12ihipStream_tbDpT10_ENKUlT_T0_E_clISt17integral_constantIbLb1EES1B_EEDaS16_S17_EUlS16_E_NS1_11comp_targetILNS1_3genE2ELNS1_11target_archE906ELNS1_3gpuE6ELNS1_3repE0EEENS1_30default_config_static_selectorELNS0_4arch9wavefront6targetE0EEEvT1_.has_indirect_call, 0
	.section	.AMDGPU.csdata,"",@progbits
; Kernel info:
; codeLenInByte = 0
; TotalNumSgprs: 0
; NumVgprs: 0
; ScratchSize: 0
; MemoryBound: 0
; FloatMode: 240
; IeeeMode: 1
; LDSByteSize: 0 bytes/workgroup (compile time only)
; SGPRBlocks: 0
; VGPRBlocks: 0
; NumSGPRsForWavesPerEU: 1
; NumVGPRsForWavesPerEU: 1
; Occupancy: 16
; WaveLimiterHint : 0
; COMPUTE_PGM_RSRC2:SCRATCH_EN: 0
; COMPUTE_PGM_RSRC2:USER_SGPR: 2
; COMPUTE_PGM_RSRC2:TRAP_HANDLER: 0
; COMPUTE_PGM_RSRC2:TGID_X_EN: 1
; COMPUTE_PGM_RSRC2:TGID_Y_EN: 0
; COMPUTE_PGM_RSRC2:TGID_Z_EN: 0
; COMPUTE_PGM_RSRC2:TIDIG_COMP_CNT: 0
	.section	.text._ZN7rocprim17ROCPRIM_400000_NS6detail17trampoline_kernelINS0_14default_configENS1_25partition_config_selectorILNS1_17partition_subalgoE5EiNS0_10empty_typeEbEEZZNS1_14partition_implILS5_5ELb0ES3_mN6thrust23THRUST_200600_302600_NS17counting_iteratorIiNSA_11use_defaultESC_SC_EEPS6_NSA_18transform_iteratorINSA_8identityIiEENSA_6detail15normal_iteratorINSA_10device_ptrIiEEEESC_SC_EENS0_5tupleIJSM_S6_EEENSO_IJSE_SE_EEES6_PlJS6_EEE10hipError_tPvRmT3_T4_T5_T6_T7_T9_mT8_P12ihipStream_tbDpT10_ENKUlT_T0_E_clISt17integral_constantIbLb1EES1B_EEDaS16_S17_EUlS16_E_NS1_11comp_targetILNS1_3genE10ELNS1_11target_archE1200ELNS1_3gpuE4ELNS1_3repE0EEENS1_30default_config_static_selectorELNS0_4arch9wavefront6targetE0EEEvT1_,"axG",@progbits,_ZN7rocprim17ROCPRIM_400000_NS6detail17trampoline_kernelINS0_14default_configENS1_25partition_config_selectorILNS1_17partition_subalgoE5EiNS0_10empty_typeEbEEZZNS1_14partition_implILS5_5ELb0ES3_mN6thrust23THRUST_200600_302600_NS17counting_iteratorIiNSA_11use_defaultESC_SC_EEPS6_NSA_18transform_iteratorINSA_8identityIiEENSA_6detail15normal_iteratorINSA_10device_ptrIiEEEESC_SC_EENS0_5tupleIJSM_S6_EEENSO_IJSE_SE_EEES6_PlJS6_EEE10hipError_tPvRmT3_T4_T5_T6_T7_T9_mT8_P12ihipStream_tbDpT10_ENKUlT_T0_E_clISt17integral_constantIbLb1EES1B_EEDaS16_S17_EUlS16_E_NS1_11comp_targetILNS1_3genE10ELNS1_11target_archE1200ELNS1_3gpuE4ELNS1_3repE0EEENS1_30default_config_static_selectorELNS0_4arch9wavefront6targetE0EEEvT1_,comdat
	.protected	_ZN7rocprim17ROCPRIM_400000_NS6detail17trampoline_kernelINS0_14default_configENS1_25partition_config_selectorILNS1_17partition_subalgoE5EiNS0_10empty_typeEbEEZZNS1_14partition_implILS5_5ELb0ES3_mN6thrust23THRUST_200600_302600_NS17counting_iteratorIiNSA_11use_defaultESC_SC_EEPS6_NSA_18transform_iteratorINSA_8identityIiEENSA_6detail15normal_iteratorINSA_10device_ptrIiEEEESC_SC_EENS0_5tupleIJSM_S6_EEENSO_IJSE_SE_EEES6_PlJS6_EEE10hipError_tPvRmT3_T4_T5_T6_T7_T9_mT8_P12ihipStream_tbDpT10_ENKUlT_T0_E_clISt17integral_constantIbLb1EES1B_EEDaS16_S17_EUlS16_E_NS1_11comp_targetILNS1_3genE10ELNS1_11target_archE1200ELNS1_3gpuE4ELNS1_3repE0EEENS1_30default_config_static_selectorELNS0_4arch9wavefront6targetE0EEEvT1_ ; -- Begin function _ZN7rocprim17ROCPRIM_400000_NS6detail17trampoline_kernelINS0_14default_configENS1_25partition_config_selectorILNS1_17partition_subalgoE5EiNS0_10empty_typeEbEEZZNS1_14partition_implILS5_5ELb0ES3_mN6thrust23THRUST_200600_302600_NS17counting_iteratorIiNSA_11use_defaultESC_SC_EEPS6_NSA_18transform_iteratorINSA_8identityIiEENSA_6detail15normal_iteratorINSA_10device_ptrIiEEEESC_SC_EENS0_5tupleIJSM_S6_EEENSO_IJSE_SE_EEES6_PlJS6_EEE10hipError_tPvRmT3_T4_T5_T6_T7_T9_mT8_P12ihipStream_tbDpT10_ENKUlT_T0_E_clISt17integral_constantIbLb1EES1B_EEDaS16_S17_EUlS16_E_NS1_11comp_targetILNS1_3genE10ELNS1_11target_archE1200ELNS1_3gpuE4ELNS1_3repE0EEENS1_30default_config_static_selectorELNS0_4arch9wavefront6targetE0EEEvT1_
	.globl	_ZN7rocprim17ROCPRIM_400000_NS6detail17trampoline_kernelINS0_14default_configENS1_25partition_config_selectorILNS1_17partition_subalgoE5EiNS0_10empty_typeEbEEZZNS1_14partition_implILS5_5ELb0ES3_mN6thrust23THRUST_200600_302600_NS17counting_iteratorIiNSA_11use_defaultESC_SC_EEPS6_NSA_18transform_iteratorINSA_8identityIiEENSA_6detail15normal_iteratorINSA_10device_ptrIiEEEESC_SC_EENS0_5tupleIJSM_S6_EEENSO_IJSE_SE_EEES6_PlJS6_EEE10hipError_tPvRmT3_T4_T5_T6_T7_T9_mT8_P12ihipStream_tbDpT10_ENKUlT_T0_E_clISt17integral_constantIbLb1EES1B_EEDaS16_S17_EUlS16_E_NS1_11comp_targetILNS1_3genE10ELNS1_11target_archE1200ELNS1_3gpuE4ELNS1_3repE0EEENS1_30default_config_static_selectorELNS0_4arch9wavefront6targetE0EEEvT1_
	.p2align	8
	.type	_ZN7rocprim17ROCPRIM_400000_NS6detail17trampoline_kernelINS0_14default_configENS1_25partition_config_selectorILNS1_17partition_subalgoE5EiNS0_10empty_typeEbEEZZNS1_14partition_implILS5_5ELb0ES3_mN6thrust23THRUST_200600_302600_NS17counting_iteratorIiNSA_11use_defaultESC_SC_EEPS6_NSA_18transform_iteratorINSA_8identityIiEENSA_6detail15normal_iteratorINSA_10device_ptrIiEEEESC_SC_EENS0_5tupleIJSM_S6_EEENSO_IJSE_SE_EEES6_PlJS6_EEE10hipError_tPvRmT3_T4_T5_T6_T7_T9_mT8_P12ihipStream_tbDpT10_ENKUlT_T0_E_clISt17integral_constantIbLb1EES1B_EEDaS16_S17_EUlS16_E_NS1_11comp_targetILNS1_3genE10ELNS1_11target_archE1200ELNS1_3gpuE4ELNS1_3repE0EEENS1_30default_config_static_selectorELNS0_4arch9wavefront6targetE0EEEvT1_,@function
_ZN7rocprim17ROCPRIM_400000_NS6detail17trampoline_kernelINS0_14default_configENS1_25partition_config_selectorILNS1_17partition_subalgoE5EiNS0_10empty_typeEbEEZZNS1_14partition_implILS5_5ELb0ES3_mN6thrust23THRUST_200600_302600_NS17counting_iteratorIiNSA_11use_defaultESC_SC_EEPS6_NSA_18transform_iteratorINSA_8identityIiEENSA_6detail15normal_iteratorINSA_10device_ptrIiEEEESC_SC_EENS0_5tupleIJSM_S6_EEENSO_IJSE_SE_EEES6_PlJS6_EEE10hipError_tPvRmT3_T4_T5_T6_T7_T9_mT8_P12ihipStream_tbDpT10_ENKUlT_T0_E_clISt17integral_constantIbLb1EES1B_EEDaS16_S17_EUlS16_E_NS1_11comp_targetILNS1_3genE10ELNS1_11target_archE1200ELNS1_3gpuE4ELNS1_3repE0EEENS1_30default_config_static_selectorELNS0_4arch9wavefront6targetE0EEEvT1_: ; @_ZN7rocprim17ROCPRIM_400000_NS6detail17trampoline_kernelINS0_14default_configENS1_25partition_config_selectorILNS1_17partition_subalgoE5EiNS0_10empty_typeEbEEZZNS1_14partition_implILS5_5ELb0ES3_mN6thrust23THRUST_200600_302600_NS17counting_iteratorIiNSA_11use_defaultESC_SC_EEPS6_NSA_18transform_iteratorINSA_8identityIiEENSA_6detail15normal_iteratorINSA_10device_ptrIiEEEESC_SC_EENS0_5tupleIJSM_S6_EEENSO_IJSE_SE_EEES6_PlJS6_EEE10hipError_tPvRmT3_T4_T5_T6_T7_T9_mT8_P12ihipStream_tbDpT10_ENKUlT_T0_E_clISt17integral_constantIbLb1EES1B_EEDaS16_S17_EUlS16_E_NS1_11comp_targetILNS1_3genE10ELNS1_11target_archE1200ELNS1_3gpuE4ELNS1_3repE0EEENS1_30default_config_static_selectorELNS0_4arch9wavefront6targetE0EEEvT1_
; %bb.0:
	s_endpgm
	.section	.rodata,"a",@progbits
	.p2align	6, 0x0
	.amdhsa_kernel _ZN7rocprim17ROCPRIM_400000_NS6detail17trampoline_kernelINS0_14default_configENS1_25partition_config_selectorILNS1_17partition_subalgoE5EiNS0_10empty_typeEbEEZZNS1_14partition_implILS5_5ELb0ES3_mN6thrust23THRUST_200600_302600_NS17counting_iteratorIiNSA_11use_defaultESC_SC_EEPS6_NSA_18transform_iteratorINSA_8identityIiEENSA_6detail15normal_iteratorINSA_10device_ptrIiEEEESC_SC_EENS0_5tupleIJSM_S6_EEENSO_IJSE_SE_EEES6_PlJS6_EEE10hipError_tPvRmT3_T4_T5_T6_T7_T9_mT8_P12ihipStream_tbDpT10_ENKUlT_T0_E_clISt17integral_constantIbLb1EES1B_EEDaS16_S17_EUlS16_E_NS1_11comp_targetILNS1_3genE10ELNS1_11target_archE1200ELNS1_3gpuE4ELNS1_3repE0EEENS1_30default_config_static_selectorELNS0_4arch9wavefront6targetE0EEEvT1_
		.amdhsa_group_segment_fixed_size 0
		.amdhsa_private_segment_fixed_size 0
		.amdhsa_kernarg_size 136
		.amdhsa_user_sgpr_count 2
		.amdhsa_user_sgpr_dispatch_ptr 0
		.amdhsa_user_sgpr_queue_ptr 0
		.amdhsa_user_sgpr_kernarg_segment_ptr 1
		.amdhsa_user_sgpr_dispatch_id 0
		.amdhsa_user_sgpr_private_segment_size 0
		.amdhsa_wavefront_size32 1
		.amdhsa_uses_dynamic_stack 0
		.amdhsa_enable_private_segment 0
		.amdhsa_system_sgpr_workgroup_id_x 1
		.amdhsa_system_sgpr_workgroup_id_y 0
		.amdhsa_system_sgpr_workgroup_id_z 0
		.amdhsa_system_sgpr_workgroup_info 0
		.amdhsa_system_vgpr_workitem_id 0
		.amdhsa_next_free_vgpr 1
		.amdhsa_next_free_sgpr 1
		.amdhsa_reserve_vcc 0
		.amdhsa_float_round_mode_32 0
		.amdhsa_float_round_mode_16_64 0
		.amdhsa_float_denorm_mode_32 3
		.amdhsa_float_denorm_mode_16_64 3
		.amdhsa_fp16_overflow 0
		.amdhsa_workgroup_processor_mode 1
		.amdhsa_memory_ordered 1
		.amdhsa_forward_progress 1
		.amdhsa_inst_pref_size 1
		.amdhsa_round_robin_scheduling 0
		.amdhsa_exception_fp_ieee_invalid_op 0
		.amdhsa_exception_fp_denorm_src 0
		.amdhsa_exception_fp_ieee_div_zero 0
		.amdhsa_exception_fp_ieee_overflow 0
		.amdhsa_exception_fp_ieee_underflow 0
		.amdhsa_exception_fp_ieee_inexact 0
		.amdhsa_exception_int_div_zero 0
	.end_amdhsa_kernel
	.section	.text._ZN7rocprim17ROCPRIM_400000_NS6detail17trampoline_kernelINS0_14default_configENS1_25partition_config_selectorILNS1_17partition_subalgoE5EiNS0_10empty_typeEbEEZZNS1_14partition_implILS5_5ELb0ES3_mN6thrust23THRUST_200600_302600_NS17counting_iteratorIiNSA_11use_defaultESC_SC_EEPS6_NSA_18transform_iteratorINSA_8identityIiEENSA_6detail15normal_iteratorINSA_10device_ptrIiEEEESC_SC_EENS0_5tupleIJSM_S6_EEENSO_IJSE_SE_EEES6_PlJS6_EEE10hipError_tPvRmT3_T4_T5_T6_T7_T9_mT8_P12ihipStream_tbDpT10_ENKUlT_T0_E_clISt17integral_constantIbLb1EES1B_EEDaS16_S17_EUlS16_E_NS1_11comp_targetILNS1_3genE10ELNS1_11target_archE1200ELNS1_3gpuE4ELNS1_3repE0EEENS1_30default_config_static_selectorELNS0_4arch9wavefront6targetE0EEEvT1_,"axG",@progbits,_ZN7rocprim17ROCPRIM_400000_NS6detail17trampoline_kernelINS0_14default_configENS1_25partition_config_selectorILNS1_17partition_subalgoE5EiNS0_10empty_typeEbEEZZNS1_14partition_implILS5_5ELb0ES3_mN6thrust23THRUST_200600_302600_NS17counting_iteratorIiNSA_11use_defaultESC_SC_EEPS6_NSA_18transform_iteratorINSA_8identityIiEENSA_6detail15normal_iteratorINSA_10device_ptrIiEEEESC_SC_EENS0_5tupleIJSM_S6_EEENSO_IJSE_SE_EEES6_PlJS6_EEE10hipError_tPvRmT3_T4_T5_T6_T7_T9_mT8_P12ihipStream_tbDpT10_ENKUlT_T0_E_clISt17integral_constantIbLb1EES1B_EEDaS16_S17_EUlS16_E_NS1_11comp_targetILNS1_3genE10ELNS1_11target_archE1200ELNS1_3gpuE4ELNS1_3repE0EEENS1_30default_config_static_selectorELNS0_4arch9wavefront6targetE0EEEvT1_,comdat
.Lfunc_end24:
	.size	_ZN7rocprim17ROCPRIM_400000_NS6detail17trampoline_kernelINS0_14default_configENS1_25partition_config_selectorILNS1_17partition_subalgoE5EiNS0_10empty_typeEbEEZZNS1_14partition_implILS5_5ELb0ES3_mN6thrust23THRUST_200600_302600_NS17counting_iteratorIiNSA_11use_defaultESC_SC_EEPS6_NSA_18transform_iteratorINSA_8identityIiEENSA_6detail15normal_iteratorINSA_10device_ptrIiEEEESC_SC_EENS0_5tupleIJSM_S6_EEENSO_IJSE_SE_EEES6_PlJS6_EEE10hipError_tPvRmT3_T4_T5_T6_T7_T9_mT8_P12ihipStream_tbDpT10_ENKUlT_T0_E_clISt17integral_constantIbLb1EES1B_EEDaS16_S17_EUlS16_E_NS1_11comp_targetILNS1_3genE10ELNS1_11target_archE1200ELNS1_3gpuE4ELNS1_3repE0EEENS1_30default_config_static_selectorELNS0_4arch9wavefront6targetE0EEEvT1_, .Lfunc_end24-_ZN7rocprim17ROCPRIM_400000_NS6detail17trampoline_kernelINS0_14default_configENS1_25partition_config_selectorILNS1_17partition_subalgoE5EiNS0_10empty_typeEbEEZZNS1_14partition_implILS5_5ELb0ES3_mN6thrust23THRUST_200600_302600_NS17counting_iteratorIiNSA_11use_defaultESC_SC_EEPS6_NSA_18transform_iteratorINSA_8identityIiEENSA_6detail15normal_iteratorINSA_10device_ptrIiEEEESC_SC_EENS0_5tupleIJSM_S6_EEENSO_IJSE_SE_EEES6_PlJS6_EEE10hipError_tPvRmT3_T4_T5_T6_T7_T9_mT8_P12ihipStream_tbDpT10_ENKUlT_T0_E_clISt17integral_constantIbLb1EES1B_EEDaS16_S17_EUlS16_E_NS1_11comp_targetILNS1_3genE10ELNS1_11target_archE1200ELNS1_3gpuE4ELNS1_3repE0EEENS1_30default_config_static_selectorELNS0_4arch9wavefront6targetE0EEEvT1_
                                        ; -- End function
	.set _ZN7rocprim17ROCPRIM_400000_NS6detail17trampoline_kernelINS0_14default_configENS1_25partition_config_selectorILNS1_17partition_subalgoE5EiNS0_10empty_typeEbEEZZNS1_14partition_implILS5_5ELb0ES3_mN6thrust23THRUST_200600_302600_NS17counting_iteratorIiNSA_11use_defaultESC_SC_EEPS6_NSA_18transform_iteratorINSA_8identityIiEENSA_6detail15normal_iteratorINSA_10device_ptrIiEEEESC_SC_EENS0_5tupleIJSM_S6_EEENSO_IJSE_SE_EEES6_PlJS6_EEE10hipError_tPvRmT3_T4_T5_T6_T7_T9_mT8_P12ihipStream_tbDpT10_ENKUlT_T0_E_clISt17integral_constantIbLb1EES1B_EEDaS16_S17_EUlS16_E_NS1_11comp_targetILNS1_3genE10ELNS1_11target_archE1200ELNS1_3gpuE4ELNS1_3repE0EEENS1_30default_config_static_selectorELNS0_4arch9wavefront6targetE0EEEvT1_.num_vgpr, 0
	.set _ZN7rocprim17ROCPRIM_400000_NS6detail17trampoline_kernelINS0_14default_configENS1_25partition_config_selectorILNS1_17partition_subalgoE5EiNS0_10empty_typeEbEEZZNS1_14partition_implILS5_5ELb0ES3_mN6thrust23THRUST_200600_302600_NS17counting_iteratorIiNSA_11use_defaultESC_SC_EEPS6_NSA_18transform_iteratorINSA_8identityIiEENSA_6detail15normal_iteratorINSA_10device_ptrIiEEEESC_SC_EENS0_5tupleIJSM_S6_EEENSO_IJSE_SE_EEES6_PlJS6_EEE10hipError_tPvRmT3_T4_T5_T6_T7_T9_mT8_P12ihipStream_tbDpT10_ENKUlT_T0_E_clISt17integral_constantIbLb1EES1B_EEDaS16_S17_EUlS16_E_NS1_11comp_targetILNS1_3genE10ELNS1_11target_archE1200ELNS1_3gpuE4ELNS1_3repE0EEENS1_30default_config_static_selectorELNS0_4arch9wavefront6targetE0EEEvT1_.num_agpr, 0
	.set _ZN7rocprim17ROCPRIM_400000_NS6detail17trampoline_kernelINS0_14default_configENS1_25partition_config_selectorILNS1_17partition_subalgoE5EiNS0_10empty_typeEbEEZZNS1_14partition_implILS5_5ELb0ES3_mN6thrust23THRUST_200600_302600_NS17counting_iteratorIiNSA_11use_defaultESC_SC_EEPS6_NSA_18transform_iteratorINSA_8identityIiEENSA_6detail15normal_iteratorINSA_10device_ptrIiEEEESC_SC_EENS0_5tupleIJSM_S6_EEENSO_IJSE_SE_EEES6_PlJS6_EEE10hipError_tPvRmT3_T4_T5_T6_T7_T9_mT8_P12ihipStream_tbDpT10_ENKUlT_T0_E_clISt17integral_constantIbLb1EES1B_EEDaS16_S17_EUlS16_E_NS1_11comp_targetILNS1_3genE10ELNS1_11target_archE1200ELNS1_3gpuE4ELNS1_3repE0EEENS1_30default_config_static_selectorELNS0_4arch9wavefront6targetE0EEEvT1_.numbered_sgpr, 0
	.set _ZN7rocprim17ROCPRIM_400000_NS6detail17trampoline_kernelINS0_14default_configENS1_25partition_config_selectorILNS1_17partition_subalgoE5EiNS0_10empty_typeEbEEZZNS1_14partition_implILS5_5ELb0ES3_mN6thrust23THRUST_200600_302600_NS17counting_iteratorIiNSA_11use_defaultESC_SC_EEPS6_NSA_18transform_iteratorINSA_8identityIiEENSA_6detail15normal_iteratorINSA_10device_ptrIiEEEESC_SC_EENS0_5tupleIJSM_S6_EEENSO_IJSE_SE_EEES6_PlJS6_EEE10hipError_tPvRmT3_T4_T5_T6_T7_T9_mT8_P12ihipStream_tbDpT10_ENKUlT_T0_E_clISt17integral_constantIbLb1EES1B_EEDaS16_S17_EUlS16_E_NS1_11comp_targetILNS1_3genE10ELNS1_11target_archE1200ELNS1_3gpuE4ELNS1_3repE0EEENS1_30default_config_static_selectorELNS0_4arch9wavefront6targetE0EEEvT1_.num_named_barrier, 0
	.set _ZN7rocprim17ROCPRIM_400000_NS6detail17trampoline_kernelINS0_14default_configENS1_25partition_config_selectorILNS1_17partition_subalgoE5EiNS0_10empty_typeEbEEZZNS1_14partition_implILS5_5ELb0ES3_mN6thrust23THRUST_200600_302600_NS17counting_iteratorIiNSA_11use_defaultESC_SC_EEPS6_NSA_18transform_iteratorINSA_8identityIiEENSA_6detail15normal_iteratorINSA_10device_ptrIiEEEESC_SC_EENS0_5tupleIJSM_S6_EEENSO_IJSE_SE_EEES6_PlJS6_EEE10hipError_tPvRmT3_T4_T5_T6_T7_T9_mT8_P12ihipStream_tbDpT10_ENKUlT_T0_E_clISt17integral_constantIbLb1EES1B_EEDaS16_S17_EUlS16_E_NS1_11comp_targetILNS1_3genE10ELNS1_11target_archE1200ELNS1_3gpuE4ELNS1_3repE0EEENS1_30default_config_static_selectorELNS0_4arch9wavefront6targetE0EEEvT1_.private_seg_size, 0
	.set _ZN7rocprim17ROCPRIM_400000_NS6detail17trampoline_kernelINS0_14default_configENS1_25partition_config_selectorILNS1_17partition_subalgoE5EiNS0_10empty_typeEbEEZZNS1_14partition_implILS5_5ELb0ES3_mN6thrust23THRUST_200600_302600_NS17counting_iteratorIiNSA_11use_defaultESC_SC_EEPS6_NSA_18transform_iteratorINSA_8identityIiEENSA_6detail15normal_iteratorINSA_10device_ptrIiEEEESC_SC_EENS0_5tupleIJSM_S6_EEENSO_IJSE_SE_EEES6_PlJS6_EEE10hipError_tPvRmT3_T4_T5_T6_T7_T9_mT8_P12ihipStream_tbDpT10_ENKUlT_T0_E_clISt17integral_constantIbLb1EES1B_EEDaS16_S17_EUlS16_E_NS1_11comp_targetILNS1_3genE10ELNS1_11target_archE1200ELNS1_3gpuE4ELNS1_3repE0EEENS1_30default_config_static_selectorELNS0_4arch9wavefront6targetE0EEEvT1_.uses_vcc, 0
	.set _ZN7rocprim17ROCPRIM_400000_NS6detail17trampoline_kernelINS0_14default_configENS1_25partition_config_selectorILNS1_17partition_subalgoE5EiNS0_10empty_typeEbEEZZNS1_14partition_implILS5_5ELb0ES3_mN6thrust23THRUST_200600_302600_NS17counting_iteratorIiNSA_11use_defaultESC_SC_EEPS6_NSA_18transform_iteratorINSA_8identityIiEENSA_6detail15normal_iteratorINSA_10device_ptrIiEEEESC_SC_EENS0_5tupleIJSM_S6_EEENSO_IJSE_SE_EEES6_PlJS6_EEE10hipError_tPvRmT3_T4_T5_T6_T7_T9_mT8_P12ihipStream_tbDpT10_ENKUlT_T0_E_clISt17integral_constantIbLb1EES1B_EEDaS16_S17_EUlS16_E_NS1_11comp_targetILNS1_3genE10ELNS1_11target_archE1200ELNS1_3gpuE4ELNS1_3repE0EEENS1_30default_config_static_selectorELNS0_4arch9wavefront6targetE0EEEvT1_.uses_flat_scratch, 0
	.set _ZN7rocprim17ROCPRIM_400000_NS6detail17trampoline_kernelINS0_14default_configENS1_25partition_config_selectorILNS1_17partition_subalgoE5EiNS0_10empty_typeEbEEZZNS1_14partition_implILS5_5ELb0ES3_mN6thrust23THRUST_200600_302600_NS17counting_iteratorIiNSA_11use_defaultESC_SC_EEPS6_NSA_18transform_iteratorINSA_8identityIiEENSA_6detail15normal_iteratorINSA_10device_ptrIiEEEESC_SC_EENS0_5tupleIJSM_S6_EEENSO_IJSE_SE_EEES6_PlJS6_EEE10hipError_tPvRmT3_T4_T5_T6_T7_T9_mT8_P12ihipStream_tbDpT10_ENKUlT_T0_E_clISt17integral_constantIbLb1EES1B_EEDaS16_S17_EUlS16_E_NS1_11comp_targetILNS1_3genE10ELNS1_11target_archE1200ELNS1_3gpuE4ELNS1_3repE0EEENS1_30default_config_static_selectorELNS0_4arch9wavefront6targetE0EEEvT1_.has_dyn_sized_stack, 0
	.set _ZN7rocprim17ROCPRIM_400000_NS6detail17trampoline_kernelINS0_14default_configENS1_25partition_config_selectorILNS1_17partition_subalgoE5EiNS0_10empty_typeEbEEZZNS1_14partition_implILS5_5ELb0ES3_mN6thrust23THRUST_200600_302600_NS17counting_iteratorIiNSA_11use_defaultESC_SC_EEPS6_NSA_18transform_iteratorINSA_8identityIiEENSA_6detail15normal_iteratorINSA_10device_ptrIiEEEESC_SC_EENS0_5tupleIJSM_S6_EEENSO_IJSE_SE_EEES6_PlJS6_EEE10hipError_tPvRmT3_T4_T5_T6_T7_T9_mT8_P12ihipStream_tbDpT10_ENKUlT_T0_E_clISt17integral_constantIbLb1EES1B_EEDaS16_S17_EUlS16_E_NS1_11comp_targetILNS1_3genE10ELNS1_11target_archE1200ELNS1_3gpuE4ELNS1_3repE0EEENS1_30default_config_static_selectorELNS0_4arch9wavefront6targetE0EEEvT1_.has_recursion, 0
	.set _ZN7rocprim17ROCPRIM_400000_NS6detail17trampoline_kernelINS0_14default_configENS1_25partition_config_selectorILNS1_17partition_subalgoE5EiNS0_10empty_typeEbEEZZNS1_14partition_implILS5_5ELb0ES3_mN6thrust23THRUST_200600_302600_NS17counting_iteratorIiNSA_11use_defaultESC_SC_EEPS6_NSA_18transform_iteratorINSA_8identityIiEENSA_6detail15normal_iteratorINSA_10device_ptrIiEEEESC_SC_EENS0_5tupleIJSM_S6_EEENSO_IJSE_SE_EEES6_PlJS6_EEE10hipError_tPvRmT3_T4_T5_T6_T7_T9_mT8_P12ihipStream_tbDpT10_ENKUlT_T0_E_clISt17integral_constantIbLb1EES1B_EEDaS16_S17_EUlS16_E_NS1_11comp_targetILNS1_3genE10ELNS1_11target_archE1200ELNS1_3gpuE4ELNS1_3repE0EEENS1_30default_config_static_selectorELNS0_4arch9wavefront6targetE0EEEvT1_.has_indirect_call, 0
	.section	.AMDGPU.csdata,"",@progbits
; Kernel info:
; codeLenInByte = 4
; TotalNumSgprs: 0
; NumVgprs: 0
; ScratchSize: 0
; MemoryBound: 0
; FloatMode: 240
; IeeeMode: 1
; LDSByteSize: 0 bytes/workgroup (compile time only)
; SGPRBlocks: 0
; VGPRBlocks: 0
; NumSGPRsForWavesPerEU: 1
; NumVGPRsForWavesPerEU: 1
; Occupancy: 16
; WaveLimiterHint : 0
; COMPUTE_PGM_RSRC2:SCRATCH_EN: 0
; COMPUTE_PGM_RSRC2:USER_SGPR: 2
; COMPUTE_PGM_RSRC2:TRAP_HANDLER: 0
; COMPUTE_PGM_RSRC2:TGID_X_EN: 1
; COMPUTE_PGM_RSRC2:TGID_Y_EN: 0
; COMPUTE_PGM_RSRC2:TGID_Z_EN: 0
; COMPUTE_PGM_RSRC2:TIDIG_COMP_CNT: 0
	.section	.text._ZN7rocprim17ROCPRIM_400000_NS6detail17trampoline_kernelINS0_14default_configENS1_25partition_config_selectorILNS1_17partition_subalgoE5EiNS0_10empty_typeEbEEZZNS1_14partition_implILS5_5ELb0ES3_mN6thrust23THRUST_200600_302600_NS17counting_iteratorIiNSA_11use_defaultESC_SC_EEPS6_NSA_18transform_iteratorINSA_8identityIiEENSA_6detail15normal_iteratorINSA_10device_ptrIiEEEESC_SC_EENS0_5tupleIJSM_S6_EEENSO_IJSE_SE_EEES6_PlJS6_EEE10hipError_tPvRmT3_T4_T5_T6_T7_T9_mT8_P12ihipStream_tbDpT10_ENKUlT_T0_E_clISt17integral_constantIbLb1EES1B_EEDaS16_S17_EUlS16_E_NS1_11comp_targetILNS1_3genE9ELNS1_11target_archE1100ELNS1_3gpuE3ELNS1_3repE0EEENS1_30default_config_static_selectorELNS0_4arch9wavefront6targetE0EEEvT1_,"axG",@progbits,_ZN7rocprim17ROCPRIM_400000_NS6detail17trampoline_kernelINS0_14default_configENS1_25partition_config_selectorILNS1_17partition_subalgoE5EiNS0_10empty_typeEbEEZZNS1_14partition_implILS5_5ELb0ES3_mN6thrust23THRUST_200600_302600_NS17counting_iteratorIiNSA_11use_defaultESC_SC_EEPS6_NSA_18transform_iteratorINSA_8identityIiEENSA_6detail15normal_iteratorINSA_10device_ptrIiEEEESC_SC_EENS0_5tupleIJSM_S6_EEENSO_IJSE_SE_EEES6_PlJS6_EEE10hipError_tPvRmT3_T4_T5_T6_T7_T9_mT8_P12ihipStream_tbDpT10_ENKUlT_T0_E_clISt17integral_constantIbLb1EES1B_EEDaS16_S17_EUlS16_E_NS1_11comp_targetILNS1_3genE9ELNS1_11target_archE1100ELNS1_3gpuE3ELNS1_3repE0EEENS1_30default_config_static_selectorELNS0_4arch9wavefront6targetE0EEEvT1_,comdat
	.protected	_ZN7rocprim17ROCPRIM_400000_NS6detail17trampoline_kernelINS0_14default_configENS1_25partition_config_selectorILNS1_17partition_subalgoE5EiNS0_10empty_typeEbEEZZNS1_14partition_implILS5_5ELb0ES3_mN6thrust23THRUST_200600_302600_NS17counting_iteratorIiNSA_11use_defaultESC_SC_EEPS6_NSA_18transform_iteratorINSA_8identityIiEENSA_6detail15normal_iteratorINSA_10device_ptrIiEEEESC_SC_EENS0_5tupleIJSM_S6_EEENSO_IJSE_SE_EEES6_PlJS6_EEE10hipError_tPvRmT3_T4_T5_T6_T7_T9_mT8_P12ihipStream_tbDpT10_ENKUlT_T0_E_clISt17integral_constantIbLb1EES1B_EEDaS16_S17_EUlS16_E_NS1_11comp_targetILNS1_3genE9ELNS1_11target_archE1100ELNS1_3gpuE3ELNS1_3repE0EEENS1_30default_config_static_selectorELNS0_4arch9wavefront6targetE0EEEvT1_ ; -- Begin function _ZN7rocprim17ROCPRIM_400000_NS6detail17trampoline_kernelINS0_14default_configENS1_25partition_config_selectorILNS1_17partition_subalgoE5EiNS0_10empty_typeEbEEZZNS1_14partition_implILS5_5ELb0ES3_mN6thrust23THRUST_200600_302600_NS17counting_iteratorIiNSA_11use_defaultESC_SC_EEPS6_NSA_18transform_iteratorINSA_8identityIiEENSA_6detail15normal_iteratorINSA_10device_ptrIiEEEESC_SC_EENS0_5tupleIJSM_S6_EEENSO_IJSE_SE_EEES6_PlJS6_EEE10hipError_tPvRmT3_T4_T5_T6_T7_T9_mT8_P12ihipStream_tbDpT10_ENKUlT_T0_E_clISt17integral_constantIbLb1EES1B_EEDaS16_S17_EUlS16_E_NS1_11comp_targetILNS1_3genE9ELNS1_11target_archE1100ELNS1_3gpuE3ELNS1_3repE0EEENS1_30default_config_static_selectorELNS0_4arch9wavefront6targetE0EEEvT1_
	.globl	_ZN7rocprim17ROCPRIM_400000_NS6detail17trampoline_kernelINS0_14default_configENS1_25partition_config_selectorILNS1_17partition_subalgoE5EiNS0_10empty_typeEbEEZZNS1_14partition_implILS5_5ELb0ES3_mN6thrust23THRUST_200600_302600_NS17counting_iteratorIiNSA_11use_defaultESC_SC_EEPS6_NSA_18transform_iteratorINSA_8identityIiEENSA_6detail15normal_iteratorINSA_10device_ptrIiEEEESC_SC_EENS0_5tupleIJSM_S6_EEENSO_IJSE_SE_EEES6_PlJS6_EEE10hipError_tPvRmT3_T4_T5_T6_T7_T9_mT8_P12ihipStream_tbDpT10_ENKUlT_T0_E_clISt17integral_constantIbLb1EES1B_EEDaS16_S17_EUlS16_E_NS1_11comp_targetILNS1_3genE9ELNS1_11target_archE1100ELNS1_3gpuE3ELNS1_3repE0EEENS1_30default_config_static_selectorELNS0_4arch9wavefront6targetE0EEEvT1_
	.p2align	8
	.type	_ZN7rocprim17ROCPRIM_400000_NS6detail17trampoline_kernelINS0_14default_configENS1_25partition_config_selectorILNS1_17partition_subalgoE5EiNS0_10empty_typeEbEEZZNS1_14partition_implILS5_5ELb0ES3_mN6thrust23THRUST_200600_302600_NS17counting_iteratorIiNSA_11use_defaultESC_SC_EEPS6_NSA_18transform_iteratorINSA_8identityIiEENSA_6detail15normal_iteratorINSA_10device_ptrIiEEEESC_SC_EENS0_5tupleIJSM_S6_EEENSO_IJSE_SE_EEES6_PlJS6_EEE10hipError_tPvRmT3_T4_T5_T6_T7_T9_mT8_P12ihipStream_tbDpT10_ENKUlT_T0_E_clISt17integral_constantIbLb1EES1B_EEDaS16_S17_EUlS16_E_NS1_11comp_targetILNS1_3genE9ELNS1_11target_archE1100ELNS1_3gpuE3ELNS1_3repE0EEENS1_30default_config_static_selectorELNS0_4arch9wavefront6targetE0EEEvT1_,@function
_ZN7rocprim17ROCPRIM_400000_NS6detail17trampoline_kernelINS0_14default_configENS1_25partition_config_selectorILNS1_17partition_subalgoE5EiNS0_10empty_typeEbEEZZNS1_14partition_implILS5_5ELb0ES3_mN6thrust23THRUST_200600_302600_NS17counting_iteratorIiNSA_11use_defaultESC_SC_EEPS6_NSA_18transform_iteratorINSA_8identityIiEENSA_6detail15normal_iteratorINSA_10device_ptrIiEEEESC_SC_EENS0_5tupleIJSM_S6_EEENSO_IJSE_SE_EEES6_PlJS6_EEE10hipError_tPvRmT3_T4_T5_T6_T7_T9_mT8_P12ihipStream_tbDpT10_ENKUlT_T0_E_clISt17integral_constantIbLb1EES1B_EEDaS16_S17_EUlS16_E_NS1_11comp_targetILNS1_3genE9ELNS1_11target_archE1100ELNS1_3gpuE3ELNS1_3repE0EEENS1_30default_config_static_selectorELNS0_4arch9wavefront6targetE0EEEvT1_: ; @_ZN7rocprim17ROCPRIM_400000_NS6detail17trampoline_kernelINS0_14default_configENS1_25partition_config_selectorILNS1_17partition_subalgoE5EiNS0_10empty_typeEbEEZZNS1_14partition_implILS5_5ELb0ES3_mN6thrust23THRUST_200600_302600_NS17counting_iteratorIiNSA_11use_defaultESC_SC_EEPS6_NSA_18transform_iteratorINSA_8identityIiEENSA_6detail15normal_iteratorINSA_10device_ptrIiEEEESC_SC_EENS0_5tupleIJSM_S6_EEENSO_IJSE_SE_EEES6_PlJS6_EEE10hipError_tPvRmT3_T4_T5_T6_T7_T9_mT8_P12ihipStream_tbDpT10_ENKUlT_T0_E_clISt17integral_constantIbLb1EES1B_EEDaS16_S17_EUlS16_E_NS1_11comp_targetILNS1_3genE9ELNS1_11target_archE1100ELNS1_3gpuE3ELNS1_3repE0EEENS1_30default_config_static_selectorELNS0_4arch9wavefront6targetE0EEEvT1_
; %bb.0:
	.section	.rodata,"a",@progbits
	.p2align	6, 0x0
	.amdhsa_kernel _ZN7rocprim17ROCPRIM_400000_NS6detail17trampoline_kernelINS0_14default_configENS1_25partition_config_selectorILNS1_17partition_subalgoE5EiNS0_10empty_typeEbEEZZNS1_14partition_implILS5_5ELb0ES3_mN6thrust23THRUST_200600_302600_NS17counting_iteratorIiNSA_11use_defaultESC_SC_EEPS6_NSA_18transform_iteratorINSA_8identityIiEENSA_6detail15normal_iteratorINSA_10device_ptrIiEEEESC_SC_EENS0_5tupleIJSM_S6_EEENSO_IJSE_SE_EEES6_PlJS6_EEE10hipError_tPvRmT3_T4_T5_T6_T7_T9_mT8_P12ihipStream_tbDpT10_ENKUlT_T0_E_clISt17integral_constantIbLb1EES1B_EEDaS16_S17_EUlS16_E_NS1_11comp_targetILNS1_3genE9ELNS1_11target_archE1100ELNS1_3gpuE3ELNS1_3repE0EEENS1_30default_config_static_selectorELNS0_4arch9wavefront6targetE0EEEvT1_
		.amdhsa_group_segment_fixed_size 0
		.amdhsa_private_segment_fixed_size 0
		.amdhsa_kernarg_size 136
		.amdhsa_user_sgpr_count 2
		.amdhsa_user_sgpr_dispatch_ptr 0
		.amdhsa_user_sgpr_queue_ptr 0
		.amdhsa_user_sgpr_kernarg_segment_ptr 1
		.amdhsa_user_sgpr_dispatch_id 0
		.amdhsa_user_sgpr_private_segment_size 0
		.amdhsa_wavefront_size32 1
		.amdhsa_uses_dynamic_stack 0
		.amdhsa_enable_private_segment 0
		.amdhsa_system_sgpr_workgroup_id_x 1
		.amdhsa_system_sgpr_workgroup_id_y 0
		.amdhsa_system_sgpr_workgroup_id_z 0
		.amdhsa_system_sgpr_workgroup_info 0
		.amdhsa_system_vgpr_workitem_id 0
		.amdhsa_next_free_vgpr 1
		.amdhsa_next_free_sgpr 1
		.amdhsa_reserve_vcc 0
		.amdhsa_float_round_mode_32 0
		.amdhsa_float_round_mode_16_64 0
		.amdhsa_float_denorm_mode_32 3
		.amdhsa_float_denorm_mode_16_64 3
		.amdhsa_fp16_overflow 0
		.amdhsa_workgroup_processor_mode 1
		.amdhsa_memory_ordered 1
		.amdhsa_forward_progress 1
		.amdhsa_inst_pref_size 0
		.amdhsa_round_robin_scheduling 0
		.amdhsa_exception_fp_ieee_invalid_op 0
		.amdhsa_exception_fp_denorm_src 0
		.amdhsa_exception_fp_ieee_div_zero 0
		.amdhsa_exception_fp_ieee_overflow 0
		.amdhsa_exception_fp_ieee_underflow 0
		.amdhsa_exception_fp_ieee_inexact 0
		.amdhsa_exception_int_div_zero 0
	.end_amdhsa_kernel
	.section	.text._ZN7rocprim17ROCPRIM_400000_NS6detail17trampoline_kernelINS0_14default_configENS1_25partition_config_selectorILNS1_17partition_subalgoE5EiNS0_10empty_typeEbEEZZNS1_14partition_implILS5_5ELb0ES3_mN6thrust23THRUST_200600_302600_NS17counting_iteratorIiNSA_11use_defaultESC_SC_EEPS6_NSA_18transform_iteratorINSA_8identityIiEENSA_6detail15normal_iteratorINSA_10device_ptrIiEEEESC_SC_EENS0_5tupleIJSM_S6_EEENSO_IJSE_SE_EEES6_PlJS6_EEE10hipError_tPvRmT3_T4_T5_T6_T7_T9_mT8_P12ihipStream_tbDpT10_ENKUlT_T0_E_clISt17integral_constantIbLb1EES1B_EEDaS16_S17_EUlS16_E_NS1_11comp_targetILNS1_3genE9ELNS1_11target_archE1100ELNS1_3gpuE3ELNS1_3repE0EEENS1_30default_config_static_selectorELNS0_4arch9wavefront6targetE0EEEvT1_,"axG",@progbits,_ZN7rocprim17ROCPRIM_400000_NS6detail17trampoline_kernelINS0_14default_configENS1_25partition_config_selectorILNS1_17partition_subalgoE5EiNS0_10empty_typeEbEEZZNS1_14partition_implILS5_5ELb0ES3_mN6thrust23THRUST_200600_302600_NS17counting_iteratorIiNSA_11use_defaultESC_SC_EEPS6_NSA_18transform_iteratorINSA_8identityIiEENSA_6detail15normal_iteratorINSA_10device_ptrIiEEEESC_SC_EENS0_5tupleIJSM_S6_EEENSO_IJSE_SE_EEES6_PlJS6_EEE10hipError_tPvRmT3_T4_T5_T6_T7_T9_mT8_P12ihipStream_tbDpT10_ENKUlT_T0_E_clISt17integral_constantIbLb1EES1B_EEDaS16_S17_EUlS16_E_NS1_11comp_targetILNS1_3genE9ELNS1_11target_archE1100ELNS1_3gpuE3ELNS1_3repE0EEENS1_30default_config_static_selectorELNS0_4arch9wavefront6targetE0EEEvT1_,comdat
.Lfunc_end25:
	.size	_ZN7rocprim17ROCPRIM_400000_NS6detail17trampoline_kernelINS0_14default_configENS1_25partition_config_selectorILNS1_17partition_subalgoE5EiNS0_10empty_typeEbEEZZNS1_14partition_implILS5_5ELb0ES3_mN6thrust23THRUST_200600_302600_NS17counting_iteratorIiNSA_11use_defaultESC_SC_EEPS6_NSA_18transform_iteratorINSA_8identityIiEENSA_6detail15normal_iteratorINSA_10device_ptrIiEEEESC_SC_EENS0_5tupleIJSM_S6_EEENSO_IJSE_SE_EEES6_PlJS6_EEE10hipError_tPvRmT3_T4_T5_T6_T7_T9_mT8_P12ihipStream_tbDpT10_ENKUlT_T0_E_clISt17integral_constantIbLb1EES1B_EEDaS16_S17_EUlS16_E_NS1_11comp_targetILNS1_3genE9ELNS1_11target_archE1100ELNS1_3gpuE3ELNS1_3repE0EEENS1_30default_config_static_selectorELNS0_4arch9wavefront6targetE0EEEvT1_, .Lfunc_end25-_ZN7rocprim17ROCPRIM_400000_NS6detail17trampoline_kernelINS0_14default_configENS1_25partition_config_selectorILNS1_17partition_subalgoE5EiNS0_10empty_typeEbEEZZNS1_14partition_implILS5_5ELb0ES3_mN6thrust23THRUST_200600_302600_NS17counting_iteratorIiNSA_11use_defaultESC_SC_EEPS6_NSA_18transform_iteratorINSA_8identityIiEENSA_6detail15normal_iteratorINSA_10device_ptrIiEEEESC_SC_EENS0_5tupleIJSM_S6_EEENSO_IJSE_SE_EEES6_PlJS6_EEE10hipError_tPvRmT3_T4_T5_T6_T7_T9_mT8_P12ihipStream_tbDpT10_ENKUlT_T0_E_clISt17integral_constantIbLb1EES1B_EEDaS16_S17_EUlS16_E_NS1_11comp_targetILNS1_3genE9ELNS1_11target_archE1100ELNS1_3gpuE3ELNS1_3repE0EEENS1_30default_config_static_selectorELNS0_4arch9wavefront6targetE0EEEvT1_
                                        ; -- End function
	.set _ZN7rocprim17ROCPRIM_400000_NS6detail17trampoline_kernelINS0_14default_configENS1_25partition_config_selectorILNS1_17partition_subalgoE5EiNS0_10empty_typeEbEEZZNS1_14partition_implILS5_5ELb0ES3_mN6thrust23THRUST_200600_302600_NS17counting_iteratorIiNSA_11use_defaultESC_SC_EEPS6_NSA_18transform_iteratorINSA_8identityIiEENSA_6detail15normal_iteratorINSA_10device_ptrIiEEEESC_SC_EENS0_5tupleIJSM_S6_EEENSO_IJSE_SE_EEES6_PlJS6_EEE10hipError_tPvRmT3_T4_T5_T6_T7_T9_mT8_P12ihipStream_tbDpT10_ENKUlT_T0_E_clISt17integral_constantIbLb1EES1B_EEDaS16_S17_EUlS16_E_NS1_11comp_targetILNS1_3genE9ELNS1_11target_archE1100ELNS1_3gpuE3ELNS1_3repE0EEENS1_30default_config_static_selectorELNS0_4arch9wavefront6targetE0EEEvT1_.num_vgpr, 0
	.set _ZN7rocprim17ROCPRIM_400000_NS6detail17trampoline_kernelINS0_14default_configENS1_25partition_config_selectorILNS1_17partition_subalgoE5EiNS0_10empty_typeEbEEZZNS1_14partition_implILS5_5ELb0ES3_mN6thrust23THRUST_200600_302600_NS17counting_iteratorIiNSA_11use_defaultESC_SC_EEPS6_NSA_18transform_iteratorINSA_8identityIiEENSA_6detail15normal_iteratorINSA_10device_ptrIiEEEESC_SC_EENS0_5tupleIJSM_S6_EEENSO_IJSE_SE_EEES6_PlJS6_EEE10hipError_tPvRmT3_T4_T5_T6_T7_T9_mT8_P12ihipStream_tbDpT10_ENKUlT_T0_E_clISt17integral_constantIbLb1EES1B_EEDaS16_S17_EUlS16_E_NS1_11comp_targetILNS1_3genE9ELNS1_11target_archE1100ELNS1_3gpuE3ELNS1_3repE0EEENS1_30default_config_static_selectorELNS0_4arch9wavefront6targetE0EEEvT1_.num_agpr, 0
	.set _ZN7rocprim17ROCPRIM_400000_NS6detail17trampoline_kernelINS0_14default_configENS1_25partition_config_selectorILNS1_17partition_subalgoE5EiNS0_10empty_typeEbEEZZNS1_14partition_implILS5_5ELb0ES3_mN6thrust23THRUST_200600_302600_NS17counting_iteratorIiNSA_11use_defaultESC_SC_EEPS6_NSA_18transform_iteratorINSA_8identityIiEENSA_6detail15normal_iteratorINSA_10device_ptrIiEEEESC_SC_EENS0_5tupleIJSM_S6_EEENSO_IJSE_SE_EEES6_PlJS6_EEE10hipError_tPvRmT3_T4_T5_T6_T7_T9_mT8_P12ihipStream_tbDpT10_ENKUlT_T0_E_clISt17integral_constantIbLb1EES1B_EEDaS16_S17_EUlS16_E_NS1_11comp_targetILNS1_3genE9ELNS1_11target_archE1100ELNS1_3gpuE3ELNS1_3repE0EEENS1_30default_config_static_selectorELNS0_4arch9wavefront6targetE0EEEvT1_.numbered_sgpr, 0
	.set _ZN7rocprim17ROCPRIM_400000_NS6detail17trampoline_kernelINS0_14default_configENS1_25partition_config_selectorILNS1_17partition_subalgoE5EiNS0_10empty_typeEbEEZZNS1_14partition_implILS5_5ELb0ES3_mN6thrust23THRUST_200600_302600_NS17counting_iteratorIiNSA_11use_defaultESC_SC_EEPS6_NSA_18transform_iteratorINSA_8identityIiEENSA_6detail15normal_iteratorINSA_10device_ptrIiEEEESC_SC_EENS0_5tupleIJSM_S6_EEENSO_IJSE_SE_EEES6_PlJS6_EEE10hipError_tPvRmT3_T4_T5_T6_T7_T9_mT8_P12ihipStream_tbDpT10_ENKUlT_T0_E_clISt17integral_constantIbLb1EES1B_EEDaS16_S17_EUlS16_E_NS1_11comp_targetILNS1_3genE9ELNS1_11target_archE1100ELNS1_3gpuE3ELNS1_3repE0EEENS1_30default_config_static_selectorELNS0_4arch9wavefront6targetE0EEEvT1_.num_named_barrier, 0
	.set _ZN7rocprim17ROCPRIM_400000_NS6detail17trampoline_kernelINS0_14default_configENS1_25partition_config_selectorILNS1_17partition_subalgoE5EiNS0_10empty_typeEbEEZZNS1_14partition_implILS5_5ELb0ES3_mN6thrust23THRUST_200600_302600_NS17counting_iteratorIiNSA_11use_defaultESC_SC_EEPS6_NSA_18transform_iteratorINSA_8identityIiEENSA_6detail15normal_iteratorINSA_10device_ptrIiEEEESC_SC_EENS0_5tupleIJSM_S6_EEENSO_IJSE_SE_EEES6_PlJS6_EEE10hipError_tPvRmT3_T4_T5_T6_T7_T9_mT8_P12ihipStream_tbDpT10_ENKUlT_T0_E_clISt17integral_constantIbLb1EES1B_EEDaS16_S17_EUlS16_E_NS1_11comp_targetILNS1_3genE9ELNS1_11target_archE1100ELNS1_3gpuE3ELNS1_3repE0EEENS1_30default_config_static_selectorELNS0_4arch9wavefront6targetE0EEEvT1_.private_seg_size, 0
	.set _ZN7rocprim17ROCPRIM_400000_NS6detail17trampoline_kernelINS0_14default_configENS1_25partition_config_selectorILNS1_17partition_subalgoE5EiNS0_10empty_typeEbEEZZNS1_14partition_implILS5_5ELb0ES3_mN6thrust23THRUST_200600_302600_NS17counting_iteratorIiNSA_11use_defaultESC_SC_EEPS6_NSA_18transform_iteratorINSA_8identityIiEENSA_6detail15normal_iteratorINSA_10device_ptrIiEEEESC_SC_EENS0_5tupleIJSM_S6_EEENSO_IJSE_SE_EEES6_PlJS6_EEE10hipError_tPvRmT3_T4_T5_T6_T7_T9_mT8_P12ihipStream_tbDpT10_ENKUlT_T0_E_clISt17integral_constantIbLb1EES1B_EEDaS16_S17_EUlS16_E_NS1_11comp_targetILNS1_3genE9ELNS1_11target_archE1100ELNS1_3gpuE3ELNS1_3repE0EEENS1_30default_config_static_selectorELNS0_4arch9wavefront6targetE0EEEvT1_.uses_vcc, 0
	.set _ZN7rocprim17ROCPRIM_400000_NS6detail17trampoline_kernelINS0_14default_configENS1_25partition_config_selectorILNS1_17partition_subalgoE5EiNS0_10empty_typeEbEEZZNS1_14partition_implILS5_5ELb0ES3_mN6thrust23THRUST_200600_302600_NS17counting_iteratorIiNSA_11use_defaultESC_SC_EEPS6_NSA_18transform_iteratorINSA_8identityIiEENSA_6detail15normal_iteratorINSA_10device_ptrIiEEEESC_SC_EENS0_5tupleIJSM_S6_EEENSO_IJSE_SE_EEES6_PlJS6_EEE10hipError_tPvRmT3_T4_T5_T6_T7_T9_mT8_P12ihipStream_tbDpT10_ENKUlT_T0_E_clISt17integral_constantIbLb1EES1B_EEDaS16_S17_EUlS16_E_NS1_11comp_targetILNS1_3genE9ELNS1_11target_archE1100ELNS1_3gpuE3ELNS1_3repE0EEENS1_30default_config_static_selectorELNS0_4arch9wavefront6targetE0EEEvT1_.uses_flat_scratch, 0
	.set _ZN7rocprim17ROCPRIM_400000_NS6detail17trampoline_kernelINS0_14default_configENS1_25partition_config_selectorILNS1_17partition_subalgoE5EiNS0_10empty_typeEbEEZZNS1_14partition_implILS5_5ELb0ES3_mN6thrust23THRUST_200600_302600_NS17counting_iteratorIiNSA_11use_defaultESC_SC_EEPS6_NSA_18transform_iteratorINSA_8identityIiEENSA_6detail15normal_iteratorINSA_10device_ptrIiEEEESC_SC_EENS0_5tupleIJSM_S6_EEENSO_IJSE_SE_EEES6_PlJS6_EEE10hipError_tPvRmT3_T4_T5_T6_T7_T9_mT8_P12ihipStream_tbDpT10_ENKUlT_T0_E_clISt17integral_constantIbLb1EES1B_EEDaS16_S17_EUlS16_E_NS1_11comp_targetILNS1_3genE9ELNS1_11target_archE1100ELNS1_3gpuE3ELNS1_3repE0EEENS1_30default_config_static_selectorELNS0_4arch9wavefront6targetE0EEEvT1_.has_dyn_sized_stack, 0
	.set _ZN7rocprim17ROCPRIM_400000_NS6detail17trampoline_kernelINS0_14default_configENS1_25partition_config_selectorILNS1_17partition_subalgoE5EiNS0_10empty_typeEbEEZZNS1_14partition_implILS5_5ELb0ES3_mN6thrust23THRUST_200600_302600_NS17counting_iteratorIiNSA_11use_defaultESC_SC_EEPS6_NSA_18transform_iteratorINSA_8identityIiEENSA_6detail15normal_iteratorINSA_10device_ptrIiEEEESC_SC_EENS0_5tupleIJSM_S6_EEENSO_IJSE_SE_EEES6_PlJS6_EEE10hipError_tPvRmT3_T4_T5_T6_T7_T9_mT8_P12ihipStream_tbDpT10_ENKUlT_T0_E_clISt17integral_constantIbLb1EES1B_EEDaS16_S17_EUlS16_E_NS1_11comp_targetILNS1_3genE9ELNS1_11target_archE1100ELNS1_3gpuE3ELNS1_3repE0EEENS1_30default_config_static_selectorELNS0_4arch9wavefront6targetE0EEEvT1_.has_recursion, 0
	.set _ZN7rocprim17ROCPRIM_400000_NS6detail17trampoline_kernelINS0_14default_configENS1_25partition_config_selectorILNS1_17partition_subalgoE5EiNS0_10empty_typeEbEEZZNS1_14partition_implILS5_5ELb0ES3_mN6thrust23THRUST_200600_302600_NS17counting_iteratorIiNSA_11use_defaultESC_SC_EEPS6_NSA_18transform_iteratorINSA_8identityIiEENSA_6detail15normal_iteratorINSA_10device_ptrIiEEEESC_SC_EENS0_5tupleIJSM_S6_EEENSO_IJSE_SE_EEES6_PlJS6_EEE10hipError_tPvRmT3_T4_T5_T6_T7_T9_mT8_P12ihipStream_tbDpT10_ENKUlT_T0_E_clISt17integral_constantIbLb1EES1B_EEDaS16_S17_EUlS16_E_NS1_11comp_targetILNS1_3genE9ELNS1_11target_archE1100ELNS1_3gpuE3ELNS1_3repE0EEENS1_30default_config_static_selectorELNS0_4arch9wavefront6targetE0EEEvT1_.has_indirect_call, 0
	.section	.AMDGPU.csdata,"",@progbits
; Kernel info:
; codeLenInByte = 0
; TotalNumSgprs: 0
; NumVgprs: 0
; ScratchSize: 0
; MemoryBound: 0
; FloatMode: 240
; IeeeMode: 1
; LDSByteSize: 0 bytes/workgroup (compile time only)
; SGPRBlocks: 0
; VGPRBlocks: 0
; NumSGPRsForWavesPerEU: 1
; NumVGPRsForWavesPerEU: 1
; Occupancy: 16
; WaveLimiterHint : 0
; COMPUTE_PGM_RSRC2:SCRATCH_EN: 0
; COMPUTE_PGM_RSRC2:USER_SGPR: 2
; COMPUTE_PGM_RSRC2:TRAP_HANDLER: 0
; COMPUTE_PGM_RSRC2:TGID_X_EN: 1
; COMPUTE_PGM_RSRC2:TGID_Y_EN: 0
; COMPUTE_PGM_RSRC2:TGID_Z_EN: 0
; COMPUTE_PGM_RSRC2:TIDIG_COMP_CNT: 0
	.section	.text._ZN7rocprim17ROCPRIM_400000_NS6detail17trampoline_kernelINS0_14default_configENS1_25partition_config_selectorILNS1_17partition_subalgoE5EiNS0_10empty_typeEbEEZZNS1_14partition_implILS5_5ELb0ES3_mN6thrust23THRUST_200600_302600_NS17counting_iteratorIiNSA_11use_defaultESC_SC_EEPS6_NSA_18transform_iteratorINSA_8identityIiEENSA_6detail15normal_iteratorINSA_10device_ptrIiEEEESC_SC_EENS0_5tupleIJSM_S6_EEENSO_IJSE_SE_EEES6_PlJS6_EEE10hipError_tPvRmT3_T4_T5_T6_T7_T9_mT8_P12ihipStream_tbDpT10_ENKUlT_T0_E_clISt17integral_constantIbLb1EES1B_EEDaS16_S17_EUlS16_E_NS1_11comp_targetILNS1_3genE8ELNS1_11target_archE1030ELNS1_3gpuE2ELNS1_3repE0EEENS1_30default_config_static_selectorELNS0_4arch9wavefront6targetE0EEEvT1_,"axG",@progbits,_ZN7rocprim17ROCPRIM_400000_NS6detail17trampoline_kernelINS0_14default_configENS1_25partition_config_selectorILNS1_17partition_subalgoE5EiNS0_10empty_typeEbEEZZNS1_14partition_implILS5_5ELb0ES3_mN6thrust23THRUST_200600_302600_NS17counting_iteratorIiNSA_11use_defaultESC_SC_EEPS6_NSA_18transform_iteratorINSA_8identityIiEENSA_6detail15normal_iteratorINSA_10device_ptrIiEEEESC_SC_EENS0_5tupleIJSM_S6_EEENSO_IJSE_SE_EEES6_PlJS6_EEE10hipError_tPvRmT3_T4_T5_T6_T7_T9_mT8_P12ihipStream_tbDpT10_ENKUlT_T0_E_clISt17integral_constantIbLb1EES1B_EEDaS16_S17_EUlS16_E_NS1_11comp_targetILNS1_3genE8ELNS1_11target_archE1030ELNS1_3gpuE2ELNS1_3repE0EEENS1_30default_config_static_selectorELNS0_4arch9wavefront6targetE0EEEvT1_,comdat
	.protected	_ZN7rocprim17ROCPRIM_400000_NS6detail17trampoline_kernelINS0_14default_configENS1_25partition_config_selectorILNS1_17partition_subalgoE5EiNS0_10empty_typeEbEEZZNS1_14partition_implILS5_5ELb0ES3_mN6thrust23THRUST_200600_302600_NS17counting_iteratorIiNSA_11use_defaultESC_SC_EEPS6_NSA_18transform_iteratorINSA_8identityIiEENSA_6detail15normal_iteratorINSA_10device_ptrIiEEEESC_SC_EENS0_5tupleIJSM_S6_EEENSO_IJSE_SE_EEES6_PlJS6_EEE10hipError_tPvRmT3_T4_T5_T6_T7_T9_mT8_P12ihipStream_tbDpT10_ENKUlT_T0_E_clISt17integral_constantIbLb1EES1B_EEDaS16_S17_EUlS16_E_NS1_11comp_targetILNS1_3genE8ELNS1_11target_archE1030ELNS1_3gpuE2ELNS1_3repE0EEENS1_30default_config_static_selectorELNS0_4arch9wavefront6targetE0EEEvT1_ ; -- Begin function _ZN7rocprim17ROCPRIM_400000_NS6detail17trampoline_kernelINS0_14default_configENS1_25partition_config_selectorILNS1_17partition_subalgoE5EiNS0_10empty_typeEbEEZZNS1_14partition_implILS5_5ELb0ES3_mN6thrust23THRUST_200600_302600_NS17counting_iteratorIiNSA_11use_defaultESC_SC_EEPS6_NSA_18transform_iteratorINSA_8identityIiEENSA_6detail15normal_iteratorINSA_10device_ptrIiEEEESC_SC_EENS0_5tupleIJSM_S6_EEENSO_IJSE_SE_EEES6_PlJS6_EEE10hipError_tPvRmT3_T4_T5_T6_T7_T9_mT8_P12ihipStream_tbDpT10_ENKUlT_T0_E_clISt17integral_constantIbLb1EES1B_EEDaS16_S17_EUlS16_E_NS1_11comp_targetILNS1_3genE8ELNS1_11target_archE1030ELNS1_3gpuE2ELNS1_3repE0EEENS1_30default_config_static_selectorELNS0_4arch9wavefront6targetE0EEEvT1_
	.globl	_ZN7rocprim17ROCPRIM_400000_NS6detail17trampoline_kernelINS0_14default_configENS1_25partition_config_selectorILNS1_17partition_subalgoE5EiNS0_10empty_typeEbEEZZNS1_14partition_implILS5_5ELb0ES3_mN6thrust23THRUST_200600_302600_NS17counting_iteratorIiNSA_11use_defaultESC_SC_EEPS6_NSA_18transform_iteratorINSA_8identityIiEENSA_6detail15normal_iteratorINSA_10device_ptrIiEEEESC_SC_EENS0_5tupleIJSM_S6_EEENSO_IJSE_SE_EEES6_PlJS6_EEE10hipError_tPvRmT3_T4_T5_T6_T7_T9_mT8_P12ihipStream_tbDpT10_ENKUlT_T0_E_clISt17integral_constantIbLb1EES1B_EEDaS16_S17_EUlS16_E_NS1_11comp_targetILNS1_3genE8ELNS1_11target_archE1030ELNS1_3gpuE2ELNS1_3repE0EEENS1_30default_config_static_selectorELNS0_4arch9wavefront6targetE0EEEvT1_
	.p2align	8
	.type	_ZN7rocprim17ROCPRIM_400000_NS6detail17trampoline_kernelINS0_14default_configENS1_25partition_config_selectorILNS1_17partition_subalgoE5EiNS0_10empty_typeEbEEZZNS1_14partition_implILS5_5ELb0ES3_mN6thrust23THRUST_200600_302600_NS17counting_iteratorIiNSA_11use_defaultESC_SC_EEPS6_NSA_18transform_iteratorINSA_8identityIiEENSA_6detail15normal_iteratorINSA_10device_ptrIiEEEESC_SC_EENS0_5tupleIJSM_S6_EEENSO_IJSE_SE_EEES6_PlJS6_EEE10hipError_tPvRmT3_T4_T5_T6_T7_T9_mT8_P12ihipStream_tbDpT10_ENKUlT_T0_E_clISt17integral_constantIbLb1EES1B_EEDaS16_S17_EUlS16_E_NS1_11comp_targetILNS1_3genE8ELNS1_11target_archE1030ELNS1_3gpuE2ELNS1_3repE0EEENS1_30default_config_static_selectorELNS0_4arch9wavefront6targetE0EEEvT1_,@function
_ZN7rocprim17ROCPRIM_400000_NS6detail17trampoline_kernelINS0_14default_configENS1_25partition_config_selectorILNS1_17partition_subalgoE5EiNS0_10empty_typeEbEEZZNS1_14partition_implILS5_5ELb0ES3_mN6thrust23THRUST_200600_302600_NS17counting_iteratorIiNSA_11use_defaultESC_SC_EEPS6_NSA_18transform_iteratorINSA_8identityIiEENSA_6detail15normal_iteratorINSA_10device_ptrIiEEEESC_SC_EENS0_5tupleIJSM_S6_EEENSO_IJSE_SE_EEES6_PlJS6_EEE10hipError_tPvRmT3_T4_T5_T6_T7_T9_mT8_P12ihipStream_tbDpT10_ENKUlT_T0_E_clISt17integral_constantIbLb1EES1B_EEDaS16_S17_EUlS16_E_NS1_11comp_targetILNS1_3genE8ELNS1_11target_archE1030ELNS1_3gpuE2ELNS1_3repE0EEENS1_30default_config_static_selectorELNS0_4arch9wavefront6targetE0EEEvT1_: ; @_ZN7rocprim17ROCPRIM_400000_NS6detail17trampoline_kernelINS0_14default_configENS1_25partition_config_selectorILNS1_17partition_subalgoE5EiNS0_10empty_typeEbEEZZNS1_14partition_implILS5_5ELb0ES3_mN6thrust23THRUST_200600_302600_NS17counting_iteratorIiNSA_11use_defaultESC_SC_EEPS6_NSA_18transform_iteratorINSA_8identityIiEENSA_6detail15normal_iteratorINSA_10device_ptrIiEEEESC_SC_EENS0_5tupleIJSM_S6_EEENSO_IJSE_SE_EEES6_PlJS6_EEE10hipError_tPvRmT3_T4_T5_T6_T7_T9_mT8_P12ihipStream_tbDpT10_ENKUlT_T0_E_clISt17integral_constantIbLb1EES1B_EEDaS16_S17_EUlS16_E_NS1_11comp_targetILNS1_3genE8ELNS1_11target_archE1030ELNS1_3gpuE2ELNS1_3repE0EEENS1_30default_config_static_selectorELNS0_4arch9wavefront6targetE0EEEvT1_
; %bb.0:
	.section	.rodata,"a",@progbits
	.p2align	6, 0x0
	.amdhsa_kernel _ZN7rocprim17ROCPRIM_400000_NS6detail17trampoline_kernelINS0_14default_configENS1_25partition_config_selectorILNS1_17partition_subalgoE5EiNS0_10empty_typeEbEEZZNS1_14partition_implILS5_5ELb0ES3_mN6thrust23THRUST_200600_302600_NS17counting_iteratorIiNSA_11use_defaultESC_SC_EEPS6_NSA_18transform_iteratorINSA_8identityIiEENSA_6detail15normal_iteratorINSA_10device_ptrIiEEEESC_SC_EENS0_5tupleIJSM_S6_EEENSO_IJSE_SE_EEES6_PlJS6_EEE10hipError_tPvRmT3_T4_T5_T6_T7_T9_mT8_P12ihipStream_tbDpT10_ENKUlT_T0_E_clISt17integral_constantIbLb1EES1B_EEDaS16_S17_EUlS16_E_NS1_11comp_targetILNS1_3genE8ELNS1_11target_archE1030ELNS1_3gpuE2ELNS1_3repE0EEENS1_30default_config_static_selectorELNS0_4arch9wavefront6targetE0EEEvT1_
		.amdhsa_group_segment_fixed_size 0
		.amdhsa_private_segment_fixed_size 0
		.amdhsa_kernarg_size 136
		.amdhsa_user_sgpr_count 2
		.amdhsa_user_sgpr_dispatch_ptr 0
		.amdhsa_user_sgpr_queue_ptr 0
		.amdhsa_user_sgpr_kernarg_segment_ptr 1
		.amdhsa_user_sgpr_dispatch_id 0
		.amdhsa_user_sgpr_private_segment_size 0
		.amdhsa_wavefront_size32 1
		.amdhsa_uses_dynamic_stack 0
		.amdhsa_enable_private_segment 0
		.amdhsa_system_sgpr_workgroup_id_x 1
		.amdhsa_system_sgpr_workgroup_id_y 0
		.amdhsa_system_sgpr_workgroup_id_z 0
		.amdhsa_system_sgpr_workgroup_info 0
		.amdhsa_system_vgpr_workitem_id 0
		.amdhsa_next_free_vgpr 1
		.amdhsa_next_free_sgpr 1
		.amdhsa_reserve_vcc 0
		.amdhsa_float_round_mode_32 0
		.amdhsa_float_round_mode_16_64 0
		.amdhsa_float_denorm_mode_32 3
		.amdhsa_float_denorm_mode_16_64 3
		.amdhsa_fp16_overflow 0
		.amdhsa_workgroup_processor_mode 1
		.amdhsa_memory_ordered 1
		.amdhsa_forward_progress 1
		.amdhsa_inst_pref_size 0
		.amdhsa_round_robin_scheduling 0
		.amdhsa_exception_fp_ieee_invalid_op 0
		.amdhsa_exception_fp_denorm_src 0
		.amdhsa_exception_fp_ieee_div_zero 0
		.amdhsa_exception_fp_ieee_overflow 0
		.amdhsa_exception_fp_ieee_underflow 0
		.amdhsa_exception_fp_ieee_inexact 0
		.amdhsa_exception_int_div_zero 0
	.end_amdhsa_kernel
	.section	.text._ZN7rocprim17ROCPRIM_400000_NS6detail17trampoline_kernelINS0_14default_configENS1_25partition_config_selectorILNS1_17partition_subalgoE5EiNS0_10empty_typeEbEEZZNS1_14partition_implILS5_5ELb0ES3_mN6thrust23THRUST_200600_302600_NS17counting_iteratorIiNSA_11use_defaultESC_SC_EEPS6_NSA_18transform_iteratorINSA_8identityIiEENSA_6detail15normal_iteratorINSA_10device_ptrIiEEEESC_SC_EENS0_5tupleIJSM_S6_EEENSO_IJSE_SE_EEES6_PlJS6_EEE10hipError_tPvRmT3_T4_T5_T6_T7_T9_mT8_P12ihipStream_tbDpT10_ENKUlT_T0_E_clISt17integral_constantIbLb1EES1B_EEDaS16_S17_EUlS16_E_NS1_11comp_targetILNS1_3genE8ELNS1_11target_archE1030ELNS1_3gpuE2ELNS1_3repE0EEENS1_30default_config_static_selectorELNS0_4arch9wavefront6targetE0EEEvT1_,"axG",@progbits,_ZN7rocprim17ROCPRIM_400000_NS6detail17trampoline_kernelINS0_14default_configENS1_25partition_config_selectorILNS1_17partition_subalgoE5EiNS0_10empty_typeEbEEZZNS1_14partition_implILS5_5ELb0ES3_mN6thrust23THRUST_200600_302600_NS17counting_iteratorIiNSA_11use_defaultESC_SC_EEPS6_NSA_18transform_iteratorINSA_8identityIiEENSA_6detail15normal_iteratorINSA_10device_ptrIiEEEESC_SC_EENS0_5tupleIJSM_S6_EEENSO_IJSE_SE_EEES6_PlJS6_EEE10hipError_tPvRmT3_T4_T5_T6_T7_T9_mT8_P12ihipStream_tbDpT10_ENKUlT_T0_E_clISt17integral_constantIbLb1EES1B_EEDaS16_S17_EUlS16_E_NS1_11comp_targetILNS1_3genE8ELNS1_11target_archE1030ELNS1_3gpuE2ELNS1_3repE0EEENS1_30default_config_static_selectorELNS0_4arch9wavefront6targetE0EEEvT1_,comdat
.Lfunc_end26:
	.size	_ZN7rocprim17ROCPRIM_400000_NS6detail17trampoline_kernelINS0_14default_configENS1_25partition_config_selectorILNS1_17partition_subalgoE5EiNS0_10empty_typeEbEEZZNS1_14partition_implILS5_5ELb0ES3_mN6thrust23THRUST_200600_302600_NS17counting_iteratorIiNSA_11use_defaultESC_SC_EEPS6_NSA_18transform_iteratorINSA_8identityIiEENSA_6detail15normal_iteratorINSA_10device_ptrIiEEEESC_SC_EENS0_5tupleIJSM_S6_EEENSO_IJSE_SE_EEES6_PlJS6_EEE10hipError_tPvRmT3_T4_T5_T6_T7_T9_mT8_P12ihipStream_tbDpT10_ENKUlT_T0_E_clISt17integral_constantIbLb1EES1B_EEDaS16_S17_EUlS16_E_NS1_11comp_targetILNS1_3genE8ELNS1_11target_archE1030ELNS1_3gpuE2ELNS1_3repE0EEENS1_30default_config_static_selectorELNS0_4arch9wavefront6targetE0EEEvT1_, .Lfunc_end26-_ZN7rocprim17ROCPRIM_400000_NS6detail17trampoline_kernelINS0_14default_configENS1_25partition_config_selectorILNS1_17partition_subalgoE5EiNS0_10empty_typeEbEEZZNS1_14partition_implILS5_5ELb0ES3_mN6thrust23THRUST_200600_302600_NS17counting_iteratorIiNSA_11use_defaultESC_SC_EEPS6_NSA_18transform_iteratorINSA_8identityIiEENSA_6detail15normal_iteratorINSA_10device_ptrIiEEEESC_SC_EENS0_5tupleIJSM_S6_EEENSO_IJSE_SE_EEES6_PlJS6_EEE10hipError_tPvRmT3_T4_T5_T6_T7_T9_mT8_P12ihipStream_tbDpT10_ENKUlT_T0_E_clISt17integral_constantIbLb1EES1B_EEDaS16_S17_EUlS16_E_NS1_11comp_targetILNS1_3genE8ELNS1_11target_archE1030ELNS1_3gpuE2ELNS1_3repE0EEENS1_30default_config_static_selectorELNS0_4arch9wavefront6targetE0EEEvT1_
                                        ; -- End function
	.set _ZN7rocprim17ROCPRIM_400000_NS6detail17trampoline_kernelINS0_14default_configENS1_25partition_config_selectorILNS1_17partition_subalgoE5EiNS0_10empty_typeEbEEZZNS1_14partition_implILS5_5ELb0ES3_mN6thrust23THRUST_200600_302600_NS17counting_iteratorIiNSA_11use_defaultESC_SC_EEPS6_NSA_18transform_iteratorINSA_8identityIiEENSA_6detail15normal_iteratorINSA_10device_ptrIiEEEESC_SC_EENS0_5tupleIJSM_S6_EEENSO_IJSE_SE_EEES6_PlJS6_EEE10hipError_tPvRmT3_T4_T5_T6_T7_T9_mT8_P12ihipStream_tbDpT10_ENKUlT_T0_E_clISt17integral_constantIbLb1EES1B_EEDaS16_S17_EUlS16_E_NS1_11comp_targetILNS1_3genE8ELNS1_11target_archE1030ELNS1_3gpuE2ELNS1_3repE0EEENS1_30default_config_static_selectorELNS0_4arch9wavefront6targetE0EEEvT1_.num_vgpr, 0
	.set _ZN7rocprim17ROCPRIM_400000_NS6detail17trampoline_kernelINS0_14default_configENS1_25partition_config_selectorILNS1_17partition_subalgoE5EiNS0_10empty_typeEbEEZZNS1_14partition_implILS5_5ELb0ES3_mN6thrust23THRUST_200600_302600_NS17counting_iteratorIiNSA_11use_defaultESC_SC_EEPS6_NSA_18transform_iteratorINSA_8identityIiEENSA_6detail15normal_iteratorINSA_10device_ptrIiEEEESC_SC_EENS0_5tupleIJSM_S6_EEENSO_IJSE_SE_EEES6_PlJS6_EEE10hipError_tPvRmT3_T4_T5_T6_T7_T9_mT8_P12ihipStream_tbDpT10_ENKUlT_T0_E_clISt17integral_constantIbLb1EES1B_EEDaS16_S17_EUlS16_E_NS1_11comp_targetILNS1_3genE8ELNS1_11target_archE1030ELNS1_3gpuE2ELNS1_3repE0EEENS1_30default_config_static_selectorELNS0_4arch9wavefront6targetE0EEEvT1_.num_agpr, 0
	.set _ZN7rocprim17ROCPRIM_400000_NS6detail17trampoline_kernelINS0_14default_configENS1_25partition_config_selectorILNS1_17partition_subalgoE5EiNS0_10empty_typeEbEEZZNS1_14partition_implILS5_5ELb0ES3_mN6thrust23THRUST_200600_302600_NS17counting_iteratorIiNSA_11use_defaultESC_SC_EEPS6_NSA_18transform_iteratorINSA_8identityIiEENSA_6detail15normal_iteratorINSA_10device_ptrIiEEEESC_SC_EENS0_5tupleIJSM_S6_EEENSO_IJSE_SE_EEES6_PlJS6_EEE10hipError_tPvRmT3_T4_T5_T6_T7_T9_mT8_P12ihipStream_tbDpT10_ENKUlT_T0_E_clISt17integral_constantIbLb1EES1B_EEDaS16_S17_EUlS16_E_NS1_11comp_targetILNS1_3genE8ELNS1_11target_archE1030ELNS1_3gpuE2ELNS1_3repE0EEENS1_30default_config_static_selectorELNS0_4arch9wavefront6targetE0EEEvT1_.numbered_sgpr, 0
	.set _ZN7rocprim17ROCPRIM_400000_NS6detail17trampoline_kernelINS0_14default_configENS1_25partition_config_selectorILNS1_17partition_subalgoE5EiNS0_10empty_typeEbEEZZNS1_14partition_implILS5_5ELb0ES3_mN6thrust23THRUST_200600_302600_NS17counting_iteratorIiNSA_11use_defaultESC_SC_EEPS6_NSA_18transform_iteratorINSA_8identityIiEENSA_6detail15normal_iteratorINSA_10device_ptrIiEEEESC_SC_EENS0_5tupleIJSM_S6_EEENSO_IJSE_SE_EEES6_PlJS6_EEE10hipError_tPvRmT3_T4_T5_T6_T7_T9_mT8_P12ihipStream_tbDpT10_ENKUlT_T0_E_clISt17integral_constantIbLb1EES1B_EEDaS16_S17_EUlS16_E_NS1_11comp_targetILNS1_3genE8ELNS1_11target_archE1030ELNS1_3gpuE2ELNS1_3repE0EEENS1_30default_config_static_selectorELNS0_4arch9wavefront6targetE0EEEvT1_.num_named_barrier, 0
	.set _ZN7rocprim17ROCPRIM_400000_NS6detail17trampoline_kernelINS0_14default_configENS1_25partition_config_selectorILNS1_17partition_subalgoE5EiNS0_10empty_typeEbEEZZNS1_14partition_implILS5_5ELb0ES3_mN6thrust23THRUST_200600_302600_NS17counting_iteratorIiNSA_11use_defaultESC_SC_EEPS6_NSA_18transform_iteratorINSA_8identityIiEENSA_6detail15normal_iteratorINSA_10device_ptrIiEEEESC_SC_EENS0_5tupleIJSM_S6_EEENSO_IJSE_SE_EEES6_PlJS6_EEE10hipError_tPvRmT3_T4_T5_T6_T7_T9_mT8_P12ihipStream_tbDpT10_ENKUlT_T0_E_clISt17integral_constantIbLb1EES1B_EEDaS16_S17_EUlS16_E_NS1_11comp_targetILNS1_3genE8ELNS1_11target_archE1030ELNS1_3gpuE2ELNS1_3repE0EEENS1_30default_config_static_selectorELNS0_4arch9wavefront6targetE0EEEvT1_.private_seg_size, 0
	.set _ZN7rocprim17ROCPRIM_400000_NS6detail17trampoline_kernelINS0_14default_configENS1_25partition_config_selectorILNS1_17partition_subalgoE5EiNS0_10empty_typeEbEEZZNS1_14partition_implILS5_5ELb0ES3_mN6thrust23THRUST_200600_302600_NS17counting_iteratorIiNSA_11use_defaultESC_SC_EEPS6_NSA_18transform_iteratorINSA_8identityIiEENSA_6detail15normal_iteratorINSA_10device_ptrIiEEEESC_SC_EENS0_5tupleIJSM_S6_EEENSO_IJSE_SE_EEES6_PlJS6_EEE10hipError_tPvRmT3_T4_T5_T6_T7_T9_mT8_P12ihipStream_tbDpT10_ENKUlT_T0_E_clISt17integral_constantIbLb1EES1B_EEDaS16_S17_EUlS16_E_NS1_11comp_targetILNS1_3genE8ELNS1_11target_archE1030ELNS1_3gpuE2ELNS1_3repE0EEENS1_30default_config_static_selectorELNS0_4arch9wavefront6targetE0EEEvT1_.uses_vcc, 0
	.set _ZN7rocprim17ROCPRIM_400000_NS6detail17trampoline_kernelINS0_14default_configENS1_25partition_config_selectorILNS1_17partition_subalgoE5EiNS0_10empty_typeEbEEZZNS1_14partition_implILS5_5ELb0ES3_mN6thrust23THRUST_200600_302600_NS17counting_iteratorIiNSA_11use_defaultESC_SC_EEPS6_NSA_18transform_iteratorINSA_8identityIiEENSA_6detail15normal_iteratorINSA_10device_ptrIiEEEESC_SC_EENS0_5tupleIJSM_S6_EEENSO_IJSE_SE_EEES6_PlJS6_EEE10hipError_tPvRmT3_T4_T5_T6_T7_T9_mT8_P12ihipStream_tbDpT10_ENKUlT_T0_E_clISt17integral_constantIbLb1EES1B_EEDaS16_S17_EUlS16_E_NS1_11comp_targetILNS1_3genE8ELNS1_11target_archE1030ELNS1_3gpuE2ELNS1_3repE0EEENS1_30default_config_static_selectorELNS0_4arch9wavefront6targetE0EEEvT1_.uses_flat_scratch, 0
	.set _ZN7rocprim17ROCPRIM_400000_NS6detail17trampoline_kernelINS0_14default_configENS1_25partition_config_selectorILNS1_17partition_subalgoE5EiNS0_10empty_typeEbEEZZNS1_14partition_implILS5_5ELb0ES3_mN6thrust23THRUST_200600_302600_NS17counting_iteratorIiNSA_11use_defaultESC_SC_EEPS6_NSA_18transform_iteratorINSA_8identityIiEENSA_6detail15normal_iteratorINSA_10device_ptrIiEEEESC_SC_EENS0_5tupleIJSM_S6_EEENSO_IJSE_SE_EEES6_PlJS6_EEE10hipError_tPvRmT3_T4_T5_T6_T7_T9_mT8_P12ihipStream_tbDpT10_ENKUlT_T0_E_clISt17integral_constantIbLb1EES1B_EEDaS16_S17_EUlS16_E_NS1_11comp_targetILNS1_3genE8ELNS1_11target_archE1030ELNS1_3gpuE2ELNS1_3repE0EEENS1_30default_config_static_selectorELNS0_4arch9wavefront6targetE0EEEvT1_.has_dyn_sized_stack, 0
	.set _ZN7rocprim17ROCPRIM_400000_NS6detail17trampoline_kernelINS0_14default_configENS1_25partition_config_selectorILNS1_17partition_subalgoE5EiNS0_10empty_typeEbEEZZNS1_14partition_implILS5_5ELb0ES3_mN6thrust23THRUST_200600_302600_NS17counting_iteratorIiNSA_11use_defaultESC_SC_EEPS6_NSA_18transform_iteratorINSA_8identityIiEENSA_6detail15normal_iteratorINSA_10device_ptrIiEEEESC_SC_EENS0_5tupleIJSM_S6_EEENSO_IJSE_SE_EEES6_PlJS6_EEE10hipError_tPvRmT3_T4_T5_T6_T7_T9_mT8_P12ihipStream_tbDpT10_ENKUlT_T0_E_clISt17integral_constantIbLb1EES1B_EEDaS16_S17_EUlS16_E_NS1_11comp_targetILNS1_3genE8ELNS1_11target_archE1030ELNS1_3gpuE2ELNS1_3repE0EEENS1_30default_config_static_selectorELNS0_4arch9wavefront6targetE0EEEvT1_.has_recursion, 0
	.set _ZN7rocprim17ROCPRIM_400000_NS6detail17trampoline_kernelINS0_14default_configENS1_25partition_config_selectorILNS1_17partition_subalgoE5EiNS0_10empty_typeEbEEZZNS1_14partition_implILS5_5ELb0ES3_mN6thrust23THRUST_200600_302600_NS17counting_iteratorIiNSA_11use_defaultESC_SC_EEPS6_NSA_18transform_iteratorINSA_8identityIiEENSA_6detail15normal_iteratorINSA_10device_ptrIiEEEESC_SC_EENS0_5tupleIJSM_S6_EEENSO_IJSE_SE_EEES6_PlJS6_EEE10hipError_tPvRmT3_T4_T5_T6_T7_T9_mT8_P12ihipStream_tbDpT10_ENKUlT_T0_E_clISt17integral_constantIbLb1EES1B_EEDaS16_S17_EUlS16_E_NS1_11comp_targetILNS1_3genE8ELNS1_11target_archE1030ELNS1_3gpuE2ELNS1_3repE0EEENS1_30default_config_static_selectorELNS0_4arch9wavefront6targetE0EEEvT1_.has_indirect_call, 0
	.section	.AMDGPU.csdata,"",@progbits
; Kernel info:
; codeLenInByte = 0
; TotalNumSgprs: 0
; NumVgprs: 0
; ScratchSize: 0
; MemoryBound: 0
; FloatMode: 240
; IeeeMode: 1
; LDSByteSize: 0 bytes/workgroup (compile time only)
; SGPRBlocks: 0
; VGPRBlocks: 0
; NumSGPRsForWavesPerEU: 1
; NumVGPRsForWavesPerEU: 1
; Occupancy: 16
; WaveLimiterHint : 0
; COMPUTE_PGM_RSRC2:SCRATCH_EN: 0
; COMPUTE_PGM_RSRC2:USER_SGPR: 2
; COMPUTE_PGM_RSRC2:TRAP_HANDLER: 0
; COMPUTE_PGM_RSRC2:TGID_X_EN: 1
; COMPUTE_PGM_RSRC2:TGID_Y_EN: 0
; COMPUTE_PGM_RSRC2:TGID_Z_EN: 0
; COMPUTE_PGM_RSRC2:TIDIG_COMP_CNT: 0
	.section	.text._ZN7rocprim17ROCPRIM_400000_NS6detail31init_lookback_scan_state_kernelINS1_19lookback_scan_stateImLb1ELb1EEENS1_16block_id_wrapperIjLb0EEEEEvT_jT0_jPNS7_10value_typeE,"axG",@progbits,_ZN7rocprim17ROCPRIM_400000_NS6detail31init_lookback_scan_state_kernelINS1_19lookback_scan_stateImLb1ELb1EEENS1_16block_id_wrapperIjLb0EEEEEvT_jT0_jPNS7_10value_typeE,comdat
	.protected	_ZN7rocprim17ROCPRIM_400000_NS6detail31init_lookback_scan_state_kernelINS1_19lookback_scan_stateImLb1ELb1EEENS1_16block_id_wrapperIjLb0EEEEEvT_jT0_jPNS7_10value_typeE ; -- Begin function _ZN7rocprim17ROCPRIM_400000_NS6detail31init_lookback_scan_state_kernelINS1_19lookback_scan_stateImLb1ELb1EEENS1_16block_id_wrapperIjLb0EEEEEvT_jT0_jPNS7_10value_typeE
	.globl	_ZN7rocprim17ROCPRIM_400000_NS6detail31init_lookback_scan_state_kernelINS1_19lookback_scan_stateImLb1ELb1EEENS1_16block_id_wrapperIjLb0EEEEEvT_jT0_jPNS7_10value_typeE
	.p2align	8
	.type	_ZN7rocprim17ROCPRIM_400000_NS6detail31init_lookback_scan_state_kernelINS1_19lookback_scan_stateImLb1ELb1EEENS1_16block_id_wrapperIjLb0EEEEEvT_jT0_jPNS7_10value_typeE,@function
_ZN7rocprim17ROCPRIM_400000_NS6detail31init_lookback_scan_state_kernelINS1_19lookback_scan_stateImLb1ELb1EEENS1_16block_id_wrapperIjLb0EEEEEvT_jT0_jPNS7_10value_typeE: ; @_ZN7rocprim17ROCPRIM_400000_NS6detail31init_lookback_scan_state_kernelINS1_19lookback_scan_stateImLb1ELb1EEENS1_16block_id_wrapperIjLb0EEEEEvT_jT0_jPNS7_10value_typeE
; %bb.0:
	s_clause 0x2
	s_load_b32 s7, s[0:1], 0x2c
	s_load_b64 s[2:3], s[0:1], 0x18
	s_load_b96 s[4:6], s[0:1], 0x0
	s_wait_kmcnt 0x0
	s_and_b32 s7, s7, 0xffff
	s_cmp_eq_u64 s[2:3], 0
	v_mad_co_u64_u32 v[0:1], null, ttmp9, s7, v[0:1]
	s_cbranch_scc1 .LBB27_10
; %bb.1:
	s_load_b32 s0, s[0:1], 0x10
	s_wait_kmcnt 0x0
	s_cmp_lt_u32 s0, s6
	s_cselect_b32 s1, s0, 0
	s_wait_alu 0xfffe
	v_cmp_eq_u32_e32 vcc_lo, s1, v0
	s_mov_b32 s1, 0
	s_and_saveexec_b32 s7, vcc_lo
	s_cbranch_execz .LBB27_9
; %bb.2:
	s_add_co_i32 s0, s0, 32
	s_mov_b32 s8, exec_lo
	s_wait_alu 0xfffe
	s_lshl_b64 s[0:1], s[0:1], 4
	v_mov_b32_e32 v5, 0
	s_wait_alu 0xfffe
	s_add_nc_u64 s[0:1], s[4:5], s[0:1]
	s_wait_alu 0xfffe
	v_dual_mov_b32 v2, s1 :: v_dual_mov_b32 v1, s0
	;;#ASMSTART
	global_load_b128 v[1:4], v[1:2] off scope:SCOPE_DEV	
s_wait_loadcnt 0x0
	;;#ASMEND
	v_and_b32_e32 v4, 0xff, v3
	s_delay_alu instid0(VALU_DEP_1)
	v_cmpx_eq_u64_e32 0, v[4:5]
	s_cbranch_execz .LBB27_8
; %bb.3:
	v_dual_mov_b32 v7, s1 :: v_dual_mov_b32 v6, s0
	s_mov_b32 s1, 1
	s_mov_b32 s0, 0
.LBB27_4:                               ; =>This Loop Header: Depth=1
                                        ;     Child Loop BB27_5 Depth 2
	s_wait_alu 0xfffe
	s_mov_b32 s9, s1
.LBB27_5:                               ;   Parent Loop BB27_4 Depth=1
                                        ; =>  This Inner Loop Header: Depth=2
	s_delay_alu instid0(SALU_CYCLE_1)
	s_add_co_i32 s9, s9, -1
	s_sleep 1
	s_cmp_eq_u32 s9, 0
	s_cbranch_scc0 .LBB27_5
; %bb.6:                                ;   in Loop: Header=BB27_4 Depth=1
	;;#ASMSTART
	global_load_b128 v[1:4], v[6:7] off scope:SCOPE_DEV	
s_wait_loadcnt 0x0
	;;#ASMEND
	v_and_b32_e32 v4, 0xff, v3
	s_cmp_lt_u32 s1, 32
	s_cselect_b32 s9, -1, 0
	s_delay_alu instid0(SALU_CYCLE_1) | instskip(NEXT) | instid1(VALU_DEP_1)
	s_cmp_lg_u32 s9, 0
	v_cmp_ne_u64_e32 vcc_lo, 0, v[4:5]
	s_add_co_ci_u32 s1, s1, 0
	s_or_b32 s0, vcc_lo, s0
	s_wait_alu 0xfffe
	s_and_not1_b32 exec_lo, exec_lo, s0
	s_cbranch_execnz .LBB27_4
; %bb.7:
	s_or_b32 exec_lo, exec_lo, s0
.LBB27_8:
	s_delay_alu instid0(SALU_CYCLE_1)
	s_or_b32 exec_lo, exec_lo, s8
	v_mov_b32_e32 v3, 0
	global_store_b64 v3, v[1:2], s[2:3]
.LBB27_9:
	s_wait_alu 0xfffe
	s_or_b32 exec_lo, exec_lo, s7
.LBB27_10:
	s_delay_alu instid0(SALU_CYCLE_1)
	s_mov_b32 s0, exec_lo
	v_cmpx_gt_u32_e64 s6, v0
	s_cbranch_execz .LBB27_12
; %bb.11:
	v_dual_mov_b32 v2, 0 :: v_dual_add_nc_u32 v1, 32, v0
	s_delay_alu instid0(VALU_DEP_1) | instskip(SKIP_2) | instid1(VALU_DEP_3)
	v_lshlrev_b64_e32 v[4:5], 4, v[1:2]
	v_mov_b32_e32 v1, v2
	v_mov_b32_e32 v3, v2
	v_add_co_u32 v6, vcc_lo, s4, v4
	s_delay_alu instid0(VALU_DEP_1)
	v_add_co_ci_u32_e64 v7, null, s5, v5, vcc_lo
	v_mov_b32_e32 v4, v2
	global_store_b128 v[6:7], v[1:4], off
.LBB27_12:
	s_wait_alu 0xfffe
	s_or_b32 exec_lo, exec_lo, s0
	s_delay_alu instid0(SALU_CYCLE_1)
	s_mov_b32 s0, exec_lo
	v_cmpx_gt_u32_e32 32, v0
	s_cbranch_execz .LBB27_14
; %bb.13:
	v_dual_mov_b32 v1, 0 :: v_dual_mov_b32 v2, 0xff
	s_delay_alu instid0(VALU_DEP_1) | instskip(SKIP_1) | instid1(VALU_DEP_2)
	v_lshlrev_b64_e32 v[3:4], 4, v[0:1]
	v_mov_b32_e32 v0, v1
	v_add_co_u32 v5, vcc_lo, s4, v3
	s_wait_alu 0xfffd
	s_delay_alu instid0(VALU_DEP_3)
	v_add_co_ci_u32_e64 v6, null, s5, v4, vcc_lo
	v_mov_b32_e32 v3, v1
	global_store_b128 v[5:6], v[0:3], off
.LBB27_14:
	s_endpgm
	.section	.rodata,"a",@progbits
	.p2align	6, 0x0
	.amdhsa_kernel _ZN7rocprim17ROCPRIM_400000_NS6detail31init_lookback_scan_state_kernelINS1_19lookback_scan_stateImLb1ELb1EEENS1_16block_id_wrapperIjLb0EEEEEvT_jT0_jPNS7_10value_typeE
		.amdhsa_group_segment_fixed_size 0
		.amdhsa_private_segment_fixed_size 0
		.amdhsa_kernarg_size 288
		.amdhsa_user_sgpr_count 2
		.amdhsa_user_sgpr_dispatch_ptr 0
		.amdhsa_user_sgpr_queue_ptr 0
		.amdhsa_user_sgpr_kernarg_segment_ptr 1
		.amdhsa_user_sgpr_dispatch_id 0
		.amdhsa_user_sgpr_private_segment_size 0
		.amdhsa_wavefront_size32 1
		.amdhsa_uses_dynamic_stack 0
		.amdhsa_enable_private_segment 0
		.amdhsa_system_sgpr_workgroup_id_x 1
		.amdhsa_system_sgpr_workgroup_id_y 0
		.amdhsa_system_sgpr_workgroup_id_z 0
		.amdhsa_system_sgpr_workgroup_info 0
		.amdhsa_system_vgpr_workitem_id 0
		.amdhsa_next_free_vgpr 8
		.amdhsa_next_free_sgpr 10
		.amdhsa_reserve_vcc 1
		.amdhsa_float_round_mode_32 0
		.amdhsa_float_round_mode_16_64 0
		.amdhsa_float_denorm_mode_32 3
		.amdhsa_float_denorm_mode_16_64 3
		.amdhsa_fp16_overflow 0
		.amdhsa_workgroup_processor_mode 1
		.amdhsa_memory_ordered 1
		.amdhsa_forward_progress 1
		.amdhsa_inst_pref_size 4
		.amdhsa_round_robin_scheduling 0
		.amdhsa_exception_fp_ieee_invalid_op 0
		.amdhsa_exception_fp_denorm_src 0
		.amdhsa_exception_fp_ieee_div_zero 0
		.amdhsa_exception_fp_ieee_overflow 0
		.amdhsa_exception_fp_ieee_underflow 0
		.amdhsa_exception_fp_ieee_inexact 0
		.amdhsa_exception_int_div_zero 0
	.end_amdhsa_kernel
	.section	.text._ZN7rocprim17ROCPRIM_400000_NS6detail31init_lookback_scan_state_kernelINS1_19lookback_scan_stateImLb1ELb1EEENS1_16block_id_wrapperIjLb0EEEEEvT_jT0_jPNS7_10value_typeE,"axG",@progbits,_ZN7rocprim17ROCPRIM_400000_NS6detail31init_lookback_scan_state_kernelINS1_19lookback_scan_stateImLb1ELb1EEENS1_16block_id_wrapperIjLb0EEEEEvT_jT0_jPNS7_10value_typeE,comdat
.Lfunc_end27:
	.size	_ZN7rocprim17ROCPRIM_400000_NS6detail31init_lookback_scan_state_kernelINS1_19lookback_scan_stateImLb1ELb1EEENS1_16block_id_wrapperIjLb0EEEEEvT_jT0_jPNS7_10value_typeE, .Lfunc_end27-_ZN7rocprim17ROCPRIM_400000_NS6detail31init_lookback_scan_state_kernelINS1_19lookback_scan_stateImLb1ELb1EEENS1_16block_id_wrapperIjLb0EEEEEvT_jT0_jPNS7_10value_typeE
                                        ; -- End function
	.set _ZN7rocprim17ROCPRIM_400000_NS6detail31init_lookback_scan_state_kernelINS1_19lookback_scan_stateImLb1ELb1EEENS1_16block_id_wrapperIjLb0EEEEEvT_jT0_jPNS7_10value_typeE.num_vgpr, 8
	.set _ZN7rocprim17ROCPRIM_400000_NS6detail31init_lookback_scan_state_kernelINS1_19lookback_scan_stateImLb1ELb1EEENS1_16block_id_wrapperIjLb0EEEEEvT_jT0_jPNS7_10value_typeE.num_agpr, 0
	.set _ZN7rocprim17ROCPRIM_400000_NS6detail31init_lookback_scan_state_kernelINS1_19lookback_scan_stateImLb1ELb1EEENS1_16block_id_wrapperIjLb0EEEEEvT_jT0_jPNS7_10value_typeE.numbered_sgpr, 10
	.set _ZN7rocprim17ROCPRIM_400000_NS6detail31init_lookback_scan_state_kernelINS1_19lookback_scan_stateImLb1ELb1EEENS1_16block_id_wrapperIjLb0EEEEEvT_jT0_jPNS7_10value_typeE.num_named_barrier, 0
	.set _ZN7rocprim17ROCPRIM_400000_NS6detail31init_lookback_scan_state_kernelINS1_19lookback_scan_stateImLb1ELb1EEENS1_16block_id_wrapperIjLb0EEEEEvT_jT0_jPNS7_10value_typeE.private_seg_size, 0
	.set _ZN7rocprim17ROCPRIM_400000_NS6detail31init_lookback_scan_state_kernelINS1_19lookback_scan_stateImLb1ELb1EEENS1_16block_id_wrapperIjLb0EEEEEvT_jT0_jPNS7_10value_typeE.uses_vcc, 1
	.set _ZN7rocprim17ROCPRIM_400000_NS6detail31init_lookback_scan_state_kernelINS1_19lookback_scan_stateImLb1ELb1EEENS1_16block_id_wrapperIjLb0EEEEEvT_jT0_jPNS7_10value_typeE.uses_flat_scratch, 0
	.set _ZN7rocprim17ROCPRIM_400000_NS6detail31init_lookback_scan_state_kernelINS1_19lookback_scan_stateImLb1ELb1EEENS1_16block_id_wrapperIjLb0EEEEEvT_jT0_jPNS7_10value_typeE.has_dyn_sized_stack, 0
	.set _ZN7rocprim17ROCPRIM_400000_NS6detail31init_lookback_scan_state_kernelINS1_19lookback_scan_stateImLb1ELb1EEENS1_16block_id_wrapperIjLb0EEEEEvT_jT0_jPNS7_10value_typeE.has_recursion, 0
	.set _ZN7rocprim17ROCPRIM_400000_NS6detail31init_lookback_scan_state_kernelINS1_19lookback_scan_stateImLb1ELb1EEENS1_16block_id_wrapperIjLb0EEEEEvT_jT0_jPNS7_10value_typeE.has_indirect_call, 0
	.section	.AMDGPU.csdata,"",@progbits
; Kernel info:
; codeLenInByte = 456
; TotalNumSgprs: 12
; NumVgprs: 8
; ScratchSize: 0
; MemoryBound: 0
; FloatMode: 240
; IeeeMode: 1
; LDSByteSize: 0 bytes/workgroup (compile time only)
; SGPRBlocks: 0
; VGPRBlocks: 0
; NumSGPRsForWavesPerEU: 12
; NumVGPRsForWavesPerEU: 8
; Occupancy: 16
; WaveLimiterHint : 0
; COMPUTE_PGM_RSRC2:SCRATCH_EN: 0
; COMPUTE_PGM_RSRC2:USER_SGPR: 2
; COMPUTE_PGM_RSRC2:TRAP_HANDLER: 0
; COMPUTE_PGM_RSRC2:TGID_X_EN: 1
; COMPUTE_PGM_RSRC2:TGID_Y_EN: 0
; COMPUTE_PGM_RSRC2:TGID_Z_EN: 0
; COMPUTE_PGM_RSRC2:TIDIG_COMP_CNT: 0
	.section	.text._ZN7rocprim17ROCPRIM_400000_NS6detail17trampoline_kernelINS0_14default_configENS1_25partition_config_selectorILNS1_17partition_subalgoE5EiNS0_10empty_typeEbEEZZNS1_14partition_implILS5_5ELb0ES3_mN6thrust23THRUST_200600_302600_NS17counting_iteratorIiNSA_11use_defaultESC_SC_EEPS6_NSA_18transform_iteratorINSA_8identityIiEENSA_6detail15normal_iteratorINSA_10device_ptrIiEEEESC_SC_EENS0_5tupleIJSM_S6_EEENSO_IJSE_SE_EEES6_PlJS6_EEE10hipError_tPvRmT3_T4_T5_T6_T7_T9_mT8_P12ihipStream_tbDpT10_ENKUlT_T0_E_clISt17integral_constantIbLb1EES1A_IbLb0EEEEDaS16_S17_EUlS16_E_NS1_11comp_targetILNS1_3genE0ELNS1_11target_archE4294967295ELNS1_3gpuE0ELNS1_3repE0EEENS1_30default_config_static_selectorELNS0_4arch9wavefront6targetE0EEEvT1_,"axG",@progbits,_ZN7rocprim17ROCPRIM_400000_NS6detail17trampoline_kernelINS0_14default_configENS1_25partition_config_selectorILNS1_17partition_subalgoE5EiNS0_10empty_typeEbEEZZNS1_14partition_implILS5_5ELb0ES3_mN6thrust23THRUST_200600_302600_NS17counting_iteratorIiNSA_11use_defaultESC_SC_EEPS6_NSA_18transform_iteratorINSA_8identityIiEENSA_6detail15normal_iteratorINSA_10device_ptrIiEEEESC_SC_EENS0_5tupleIJSM_S6_EEENSO_IJSE_SE_EEES6_PlJS6_EEE10hipError_tPvRmT3_T4_T5_T6_T7_T9_mT8_P12ihipStream_tbDpT10_ENKUlT_T0_E_clISt17integral_constantIbLb1EES1A_IbLb0EEEEDaS16_S17_EUlS16_E_NS1_11comp_targetILNS1_3genE0ELNS1_11target_archE4294967295ELNS1_3gpuE0ELNS1_3repE0EEENS1_30default_config_static_selectorELNS0_4arch9wavefront6targetE0EEEvT1_,comdat
	.protected	_ZN7rocprim17ROCPRIM_400000_NS6detail17trampoline_kernelINS0_14default_configENS1_25partition_config_selectorILNS1_17partition_subalgoE5EiNS0_10empty_typeEbEEZZNS1_14partition_implILS5_5ELb0ES3_mN6thrust23THRUST_200600_302600_NS17counting_iteratorIiNSA_11use_defaultESC_SC_EEPS6_NSA_18transform_iteratorINSA_8identityIiEENSA_6detail15normal_iteratorINSA_10device_ptrIiEEEESC_SC_EENS0_5tupleIJSM_S6_EEENSO_IJSE_SE_EEES6_PlJS6_EEE10hipError_tPvRmT3_T4_T5_T6_T7_T9_mT8_P12ihipStream_tbDpT10_ENKUlT_T0_E_clISt17integral_constantIbLb1EES1A_IbLb0EEEEDaS16_S17_EUlS16_E_NS1_11comp_targetILNS1_3genE0ELNS1_11target_archE4294967295ELNS1_3gpuE0ELNS1_3repE0EEENS1_30default_config_static_selectorELNS0_4arch9wavefront6targetE0EEEvT1_ ; -- Begin function _ZN7rocprim17ROCPRIM_400000_NS6detail17trampoline_kernelINS0_14default_configENS1_25partition_config_selectorILNS1_17partition_subalgoE5EiNS0_10empty_typeEbEEZZNS1_14partition_implILS5_5ELb0ES3_mN6thrust23THRUST_200600_302600_NS17counting_iteratorIiNSA_11use_defaultESC_SC_EEPS6_NSA_18transform_iteratorINSA_8identityIiEENSA_6detail15normal_iteratorINSA_10device_ptrIiEEEESC_SC_EENS0_5tupleIJSM_S6_EEENSO_IJSE_SE_EEES6_PlJS6_EEE10hipError_tPvRmT3_T4_T5_T6_T7_T9_mT8_P12ihipStream_tbDpT10_ENKUlT_T0_E_clISt17integral_constantIbLb1EES1A_IbLb0EEEEDaS16_S17_EUlS16_E_NS1_11comp_targetILNS1_3genE0ELNS1_11target_archE4294967295ELNS1_3gpuE0ELNS1_3repE0EEENS1_30default_config_static_selectorELNS0_4arch9wavefront6targetE0EEEvT1_
	.globl	_ZN7rocprim17ROCPRIM_400000_NS6detail17trampoline_kernelINS0_14default_configENS1_25partition_config_selectorILNS1_17partition_subalgoE5EiNS0_10empty_typeEbEEZZNS1_14partition_implILS5_5ELb0ES3_mN6thrust23THRUST_200600_302600_NS17counting_iteratorIiNSA_11use_defaultESC_SC_EEPS6_NSA_18transform_iteratorINSA_8identityIiEENSA_6detail15normal_iteratorINSA_10device_ptrIiEEEESC_SC_EENS0_5tupleIJSM_S6_EEENSO_IJSE_SE_EEES6_PlJS6_EEE10hipError_tPvRmT3_T4_T5_T6_T7_T9_mT8_P12ihipStream_tbDpT10_ENKUlT_T0_E_clISt17integral_constantIbLb1EES1A_IbLb0EEEEDaS16_S17_EUlS16_E_NS1_11comp_targetILNS1_3genE0ELNS1_11target_archE4294967295ELNS1_3gpuE0ELNS1_3repE0EEENS1_30default_config_static_selectorELNS0_4arch9wavefront6targetE0EEEvT1_
	.p2align	8
	.type	_ZN7rocprim17ROCPRIM_400000_NS6detail17trampoline_kernelINS0_14default_configENS1_25partition_config_selectorILNS1_17partition_subalgoE5EiNS0_10empty_typeEbEEZZNS1_14partition_implILS5_5ELb0ES3_mN6thrust23THRUST_200600_302600_NS17counting_iteratorIiNSA_11use_defaultESC_SC_EEPS6_NSA_18transform_iteratorINSA_8identityIiEENSA_6detail15normal_iteratorINSA_10device_ptrIiEEEESC_SC_EENS0_5tupleIJSM_S6_EEENSO_IJSE_SE_EEES6_PlJS6_EEE10hipError_tPvRmT3_T4_T5_T6_T7_T9_mT8_P12ihipStream_tbDpT10_ENKUlT_T0_E_clISt17integral_constantIbLb1EES1A_IbLb0EEEEDaS16_S17_EUlS16_E_NS1_11comp_targetILNS1_3genE0ELNS1_11target_archE4294967295ELNS1_3gpuE0ELNS1_3repE0EEENS1_30default_config_static_selectorELNS0_4arch9wavefront6targetE0EEEvT1_,@function
_ZN7rocprim17ROCPRIM_400000_NS6detail17trampoline_kernelINS0_14default_configENS1_25partition_config_selectorILNS1_17partition_subalgoE5EiNS0_10empty_typeEbEEZZNS1_14partition_implILS5_5ELb0ES3_mN6thrust23THRUST_200600_302600_NS17counting_iteratorIiNSA_11use_defaultESC_SC_EEPS6_NSA_18transform_iteratorINSA_8identityIiEENSA_6detail15normal_iteratorINSA_10device_ptrIiEEEESC_SC_EENS0_5tupleIJSM_S6_EEENSO_IJSE_SE_EEES6_PlJS6_EEE10hipError_tPvRmT3_T4_T5_T6_T7_T9_mT8_P12ihipStream_tbDpT10_ENKUlT_T0_E_clISt17integral_constantIbLb1EES1A_IbLb0EEEEDaS16_S17_EUlS16_E_NS1_11comp_targetILNS1_3genE0ELNS1_11target_archE4294967295ELNS1_3gpuE0ELNS1_3repE0EEENS1_30default_config_static_selectorELNS0_4arch9wavefront6targetE0EEEvT1_: ; @_ZN7rocprim17ROCPRIM_400000_NS6detail17trampoline_kernelINS0_14default_configENS1_25partition_config_selectorILNS1_17partition_subalgoE5EiNS0_10empty_typeEbEEZZNS1_14partition_implILS5_5ELb0ES3_mN6thrust23THRUST_200600_302600_NS17counting_iteratorIiNSA_11use_defaultESC_SC_EEPS6_NSA_18transform_iteratorINSA_8identityIiEENSA_6detail15normal_iteratorINSA_10device_ptrIiEEEESC_SC_EENS0_5tupleIJSM_S6_EEENSO_IJSE_SE_EEES6_PlJS6_EEE10hipError_tPvRmT3_T4_T5_T6_T7_T9_mT8_P12ihipStream_tbDpT10_ENKUlT_T0_E_clISt17integral_constantIbLb1EES1A_IbLb0EEEEDaS16_S17_EUlS16_E_NS1_11comp_targetILNS1_3genE0ELNS1_11target_archE4294967295ELNS1_3gpuE0ELNS1_3repE0EEENS1_30default_config_static_selectorELNS0_4arch9wavefront6targetE0EEEvT1_
; %bb.0:
	.section	.rodata,"a",@progbits
	.p2align	6, 0x0
	.amdhsa_kernel _ZN7rocprim17ROCPRIM_400000_NS6detail17trampoline_kernelINS0_14default_configENS1_25partition_config_selectorILNS1_17partition_subalgoE5EiNS0_10empty_typeEbEEZZNS1_14partition_implILS5_5ELb0ES3_mN6thrust23THRUST_200600_302600_NS17counting_iteratorIiNSA_11use_defaultESC_SC_EEPS6_NSA_18transform_iteratorINSA_8identityIiEENSA_6detail15normal_iteratorINSA_10device_ptrIiEEEESC_SC_EENS0_5tupleIJSM_S6_EEENSO_IJSE_SE_EEES6_PlJS6_EEE10hipError_tPvRmT3_T4_T5_T6_T7_T9_mT8_P12ihipStream_tbDpT10_ENKUlT_T0_E_clISt17integral_constantIbLb1EES1A_IbLb0EEEEDaS16_S17_EUlS16_E_NS1_11comp_targetILNS1_3genE0ELNS1_11target_archE4294967295ELNS1_3gpuE0ELNS1_3repE0EEENS1_30default_config_static_selectorELNS0_4arch9wavefront6targetE0EEEvT1_
		.amdhsa_group_segment_fixed_size 0
		.amdhsa_private_segment_fixed_size 0
		.amdhsa_kernarg_size 120
		.amdhsa_user_sgpr_count 2
		.amdhsa_user_sgpr_dispatch_ptr 0
		.amdhsa_user_sgpr_queue_ptr 0
		.amdhsa_user_sgpr_kernarg_segment_ptr 1
		.amdhsa_user_sgpr_dispatch_id 0
		.amdhsa_user_sgpr_private_segment_size 0
		.amdhsa_wavefront_size32 1
		.amdhsa_uses_dynamic_stack 0
		.amdhsa_enable_private_segment 0
		.amdhsa_system_sgpr_workgroup_id_x 1
		.amdhsa_system_sgpr_workgroup_id_y 0
		.amdhsa_system_sgpr_workgroup_id_z 0
		.amdhsa_system_sgpr_workgroup_info 0
		.amdhsa_system_vgpr_workitem_id 0
		.amdhsa_next_free_vgpr 1
		.amdhsa_next_free_sgpr 1
		.amdhsa_reserve_vcc 0
		.amdhsa_float_round_mode_32 0
		.amdhsa_float_round_mode_16_64 0
		.amdhsa_float_denorm_mode_32 3
		.amdhsa_float_denorm_mode_16_64 3
		.amdhsa_fp16_overflow 0
		.amdhsa_workgroup_processor_mode 1
		.amdhsa_memory_ordered 1
		.amdhsa_forward_progress 1
		.amdhsa_inst_pref_size 0
		.amdhsa_round_robin_scheduling 0
		.amdhsa_exception_fp_ieee_invalid_op 0
		.amdhsa_exception_fp_denorm_src 0
		.amdhsa_exception_fp_ieee_div_zero 0
		.amdhsa_exception_fp_ieee_overflow 0
		.amdhsa_exception_fp_ieee_underflow 0
		.amdhsa_exception_fp_ieee_inexact 0
		.amdhsa_exception_int_div_zero 0
	.end_amdhsa_kernel
	.section	.text._ZN7rocprim17ROCPRIM_400000_NS6detail17trampoline_kernelINS0_14default_configENS1_25partition_config_selectorILNS1_17partition_subalgoE5EiNS0_10empty_typeEbEEZZNS1_14partition_implILS5_5ELb0ES3_mN6thrust23THRUST_200600_302600_NS17counting_iteratorIiNSA_11use_defaultESC_SC_EEPS6_NSA_18transform_iteratorINSA_8identityIiEENSA_6detail15normal_iteratorINSA_10device_ptrIiEEEESC_SC_EENS0_5tupleIJSM_S6_EEENSO_IJSE_SE_EEES6_PlJS6_EEE10hipError_tPvRmT3_T4_T5_T6_T7_T9_mT8_P12ihipStream_tbDpT10_ENKUlT_T0_E_clISt17integral_constantIbLb1EES1A_IbLb0EEEEDaS16_S17_EUlS16_E_NS1_11comp_targetILNS1_3genE0ELNS1_11target_archE4294967295ELNS1_3gpuE0ELNS1_3repE0EEENS1_30default_config_static_selectorELNS0_4arch9wavefront6targetE0EEEvT1_,"axG",@progbits,_ZN7rocprim17ROCPRIM_400000_NS6detail17trampoline_kernelINS0_14default_configENS1_25partition_config_selectorILNS1_17partition_subalgoE5EiNS0_10empty_typeEbEEZZNS1_14partition_implILS5_5ELb0ES3_mN6thrust23THRUST_200600_302600_NS17counting_iteratorIiNSA_11use_defaultESC_SC_EEPS6_NSA_18transform_iteratorINSA_8identityIiEENSA_6detail15normal_iteratorINSA_10device_ptrIiEEEESC_SC_EENS0_5tupleIJSM_S6_EEENSO_IJSE_SE_EEES6_PlJS6_EEE10hipError_tPvRmT3_T4_T5_T6_T7_T9_mT8_P12ihipStream_tbDpT10_ENKUlT_T0_E_clISt17integral_constantIbLb1EES1A_IbLb0EEEEDaS16_S17_EUlS16_E_NS1_11comp_targetILNS1_3genE0ELNS1_11target_archE4294967295ELNS1_3gpuE0ELNS1_3repE0EEENS1_30default_config_static_selectorELNS0_4arch9wavefront6targetE0EEEvT1_,comdat
.Lfunc_end28:
	.size	_ZN7rocprim17ROCPRIM_400000_NS6detail17trampoline_kernelINS0_14default_configENS1_25partition_config_selectorILNS1_17partition_subalgoE5EiNS0_10empty_typeEbEEZZNS1_14partition_implILS5_5ELb0ES3_mN6thrust23THRUST_200600_302600_NS17counting_iteratorIiNSA_11use_defaultESC_SC_EEPS6_NSA_18transform_iteratorINSA_8identityIiEENSA_6detail15normal_iteratorINSA_10device_ptrIiEEEESC_SC_EENS0_5tupleIJSM_S6_EEENSO_IJSE_SE_EEES6_PlJS6_EEE10hipError_tPvRmT3_T4_T5_T6_T7_T9_mT8_P12ihipStream_tbDpT10_ENKUlT_T0_E_clISt17integral_constantIbLb1EES1A_IbLb0EEEEDaS16_S17_EUlS16_E_NS1_11comp_targetILNS1_3genE0ELNS1_11target_archE4294967295ELNS1_3gpuE0ELNS1_3repE0EEENS1_30default_config_static_selectorELNS0_4arch9wavefront6targetE0EEEvT1_, .Lfunc_end28-_ZN7rocprim17ROCPRIM_400000_NS6detail17trampoline_kernelINS0_14default_configENS1_25partition_config_selectorILNS1_17partition_subalgoE5EiNS0_10empty_typeEbEEZZNS1_14partition_implILS5_5ELb0ES3_mN6thrust23THRUST_200600_302600_NS17counting_iteratorIiNSA_11use_defaultESC_SC_EEPS6_NSA_18transform_iteratorINSA_8identityIiEENSA_6detail15normal_iteratorINSA_10device_ptrIiEEEESC_SC_EENS0_5tupleIJSM_S6_EEENSO_IJSE_SE_EEES6_PlJS6_EEE10hipError_tPvRmT3_T4_T5_T6_T7_T9_mT8_P12ihipStream_tbDpT10_ENKUlT_T0_E_clISt17integral_constantIbLb1EES1A_IbLb0EEEEDaS16_S17_EUlS16_E_NS1_11comp_targetILNS1_3genE0ELNS1_11target_archE4294967295ELNS1_3gpuE0ELNS1_3repE0EEENS1_30default_config_static_selectorELNS0_4arch9wavefront6targetE0EEEvT1_
                                        ; -- End function
	.set _ZN7rocprim17ROCPRIM_400000_NS6detail17trampoline_kernelINS0_14default_configENS1_25partition_config_selectorILNS1_17partition_subalgoE5EiNS0_10empty_typeEbEEZZNS1_14partition_implILS5_5ELb0ES3_mN6thrust23THRUST_200600_302600_NS17counting_iteratorIiNSA_11use_defaultESC_SC_EEPS6_NSA_18transform_iteratorINSA_8identityIiEENSA_6detail15normal_iteratorINSA_10device_ptrIiEEEESC_SC_EENS0_5tupleIJSM_S6_EEENSO_IJSE_SE_EEES6_PlJS6_EEE10hipError_tPvRmT3_T4_T5_T6_T7_T9_mT8_P12ihipStream_tbDpT10_ENKUlT_T0_E_clISt17integral_constantIbLb1EES1A_IbLb0EEEEDaS16_S17_EUlS16_E_NS1_11comp_targetILNS1_3genE0ELNS1_11target_archE4294967295ELNS1_3gpuE0ELNS1_3repE0EEENS1_30default_config_static_selectorELNS0_4arch9wavefront6targetE0EEEvT1_.num_vgpr, 0
	.set _ZN7rocprim17ROCPRIM_400000_NS6detail17trampoline_kernelINS0_14default_configENS1_25partition_config_selectorILNS1_17partition_subalgoE5EiNS0_10empty_typeEbEEZZNS1_14partition_implILS5_5ELb0ES3_mN6thrust23THRUST_200600_302600_NS17counting_iteratorIiNSA_11use_defaultESC_SC_EEPS6_NSA_18transform_iteratorINSA_8identityIiEENSA_6detail15normal_iteratorINSA_10device_ptrIiEEEESC_SC_EENS0_5tupleIJSM_S6_EEENSO_IJSE_SE_EEES6_PlJS6_EEE10hipError_tPvRmT3_T4_T5_T6_T7_T9_mT8_P12ihipStream_tbDpT10_ENKUlT_T0_E_clISt17integral_constantIbLb1EES1A_IbLb0EEEEDaS16_S17_EUlS16_E_NS1_11comp_targetILNS1_3genE0ELNS1_11target_archE4294967295ELNS1_3gpuE0ELNS1_3repE0EEENS1_30default_config_static_selectorELNS0_4arch9wavefront6targetE0EEEvT1_.num_agpr, 0
	.set _ZN7rocprim17ROCPRIM_400000_NS6detail17trampoline_kernelINS0_14default_configENS1_25partition_config_selectorILNS1_17partition_subalgoE5EiNS0_10empty_typeEbEEZZNS1_14partition_implILS5_5ELb0ES3_mN6thrust23THRUST_200600_302600_NS17counting_iteratorIiNSA_11use_defaultESC_SC_EEPS6_NSA_18transform_iteratorINSA_8identityIiEENSA_6detail15normal_iteratorINSA_10device_ptrIiEEEESC_SC_EENS0_5tupleIJSM_S6_EEENSO_IJSE_SE_EEES6_PlJS6_EEE10hipError_tPvRmT3_T4_T5_T6_T7_T9_mT8_P12ihipStream_tbDpT10_ENKUlT_T0_E_clISt17integral_constantIbLb1EES1A_IbLb0EEEEDaS16_S17_EUlS16_E_NS1_11comp_targetILNS1_3genE0ELNS1_11target_archE4294967295ELNS1_3gpuE0ELNS1_3repE0EEENS1_30default_config_static_selectorELNS0_4arch9wavefront6targetE0EEEvT1_.numbered_sgpr, 0
	.set _ZN7rocprim17ROCPRIM_400000_NS6detail17trampoline_kernelINS0_14default_configENS1_25partition_config_selectorILNS1_17partition_subalgoE5EiNS0_10empty_typeEbEEZZNS1_14partition_implILS5_5ELb0ES3_mN6thrust23THRUST_200600_302600_NS17counting_iteratorIiNSA_11use_defaultESC_SC_EEPS6_NSA_18transform_iteratorINSA_8identityIiEENSA_6detail15normal_iteratorINSA_10device_ptrIiEEEESC_SC_EENS0_5tupleIJSM_S6_EEENSO_IJSE_SE_EEES6_PlJS6_EEE10hipError_tPvRmT3_T4_T5_T6_T7_T9_mT8_P12ihipStream_tbDpT10_ENKUlT_T0_E_clISt17integral_constantIbLb1EES1A_IbLb0EEEEDaS16_S17_EUlS16_E_NS1_11comp_targetILNS1_3genE0ELNS1_11target_archE4294967295ELNS1_3gpuE0ELNS1_3repE0EEENS1_30default_config_static_selectorELNS0_4arch9wavefront6targetE0EEEvT1_.num_named_barrier, 0
	.set _ZN7rocprim17ROCPRIM_400000_NS6detail17trampoline_kernelINS0_14default_configENS1_25partition_config_selectorILNS1_17partition_subalgoE5EiNS0_10empty_typeEbEEZZNS1_14partition_implILS5_5ELb0ES3_mN6thrust23THRUST_200600_302600_NS17counting_iteratorIiNSA_11use_defaultESC_SC_EEPS6_NSA_18transform_iteratorINSA_8identityIiEENSA_6detail15normal_iteratorINSA_10device_ptrIiEEEESC_SC_EENS0_5tupleIJSM_S6_EEENSO_IJSE_SE_EEES6_PlJS6_EEE10hipError_tPvRmT3_T4_T5_T6_T7_T9_mT8_P12ihipStream_tbDpT10_ENKUlT_T0_E_clISt17integral_constantIbLb1EES1A_IbLb0EEEEDaS16_S17_EUlS16_E_NS1_11comp_targetILNS1_3genE0ELNS1_11target_archE4294967295ELNS1_3gpuE0ELNS1_3repE0EEENS1_30default_config_static_selectorELNS0_4arch9wavefront6targetE0EEEvT1_.private_seg_size, 0
	.set _ZN7rocprim17ROCPRIM_400000_NS6detail17trampoline_kernelINS0_14default_configENS1_25partition_config_selectorILNS1_17partition_subalgoE5EiNS0_10empty_typeEbEEZZNS1_14partition_implILS5_5ELb0ES3_mN6thrust23THRUST_200600_302600_NS17counting_iteratorIiNSA_11use_defaultESC_SC_EEPS6_NSA_18transform_iteratorINSA_8identityIiEENSA_6detail15normal_iteratorINSA_10device_ptrIiEEEESC_SC_EENS0_5tupleIJSM_S6_EEENSO_IJSE_SE_EEES6_PlJS6_EEE10hipError_tPvRmT3_T4_T5_T6_T7_T9_mT8_P12ihipStream_tbDpT10_ENKUlT_T0_E_clISt17integral_constantIbLb1EES1A_IbLb0EEEEDaS16_S17_EUlS16_E_NS1_11comp_targetILNS1_3genE0ELNS1_11target_archE4294967295ELNS1_3gpuE0ELNS1_3repE0EEENS1_30default_config_static_selectorELNS0_4arch9wavefront6targetE0EEEvT1_.uses_vcc, 0
	.set _ZN7rocprim17ROCPRIM_400000_NS6detail17trampoline_kernelINS0_14default_configENS1_25partition_config_selectorILNS1_17partition_subalgoE5EiNS0_10empty_typeEbEEZZNS1_14partition_implILS5_5ELb0ES3_mN6thrust23THRUST_200600_302600_NS17counting_iteratorIiNSA_11use_defaultESC_SC_EEPS6_NSA_18transform_iteratorINSA_8identityIiEENSA_6detail15normal_iteratorINSA_10device_ptrIiEEEESC_SC_EENS0_5tupleIJSM_S6_EEENSO_IJSE_SE_EEES6_PlJS6_EEE10hipError_tPvRmT3_T4_T5_T6_T7_T9_mT8_P12ihipStream_tbDpT10_ENKUlT_T0_E_clISt17integral_constantIbLb1EES1A_IbLb0EEEEDaS16_S17_EUlS16_E_NS1_11comp_targetILNS1_3genE0ELNS1_11target_archE4294967295ELNS1_3gpuE0ELNS1_3repE0EEENS1_30default_config_static_selectorELNS0_4arch9wavefront6targetE0EEEvT1_.uses_flat_scratch, 0
	.set _ZN7rocprim17ROCPRIM_400000_NS6detail17trampoline_kernelINS0_14default_configENS1_25partition_config_selectorILNS1_17partition_subalgoE5EiNS0_10empty_typeEbEEZZNS1_14partition_implILS5_5ELb0ES3_mN6thrust23THRUST_200600_302600_NS17counting_iteratorIiNSA_11use_defaultESC_SC_EEPS6_NSA_18transform_iteratorINSA_8identityIiEENSA_6detail15normal_iteratorINSA_10device_ptrIiEEEESC_SC_EENS0_5tupleIJSM_S6_EEENSO_IJSE_SE_EEES6_PlJS6_EEE10hipError_tPvRmT3_T4_T5_T6_T7_T9_mT8_P12ihipStream_tbDpT10_ENKUlT_T0_E_clISt17integral_constantIbLb1EES1A_IbLb0EEEEDaS16_S17_EUlS16_E_NS1_11comp_targetILNS1_3genE0ELNS1_11target_archE4294967295ELNS1_3gpuE0ELNS1_3repE0EEENS1_30default_config_static_selectorELNS0_4arch9wavefront6targetE0EEEvT1_.has_dyn_sized_stack, 0
	.set _ZN7rocprim17ROCPRIM_400000_NS6detail17trampoline_kernelINS0_14default_configENS1_25partition_config_selectorILNS1_17partition_subalgoE5EiNS0_10empty_typeEbEEZZNS1_14partition_implILS5_5ELb0ES3_mN6thrust23THRUST_200600_302600_NS17counting_iteratorIiNSA_11use_defaultESC_SC_EEPS6_NSA_18transform_iteratorINSA_8identityIiEENSA_6detail15normal_iteratorINSA_10device_ptrIiEEEESC_SC_EENS0_5tupleIJSM_S6_EEENSO_IJSE_SE_EEES6_PlJS6_EEE10hipError_tPvRmT3_T4_T5_T6_T7_T9_mT8_P12ihipStream_tbDpT10_ENKUlT_T0_E_clISt17integral_constantIbLb1EES1A_IbLb0EEEEDaS16_S17_EUlS16_E_NS1_11comp_targetILNS1_3genE0ELNS1_11target_archE4294967295ELNS1_3gpuE0ELNS1_3repE0EEENS1_30default_config_static_selectorELNS0_4arch9wavefront6targetE0EEEvT1_.has_recursion, 0
	.set _ZN7rocprim17ROCPRIM_400000_NS6detail17trampoline_kernelINS0_14default_configENS1_25partition_config_selectorILNS1_17partition_subalgoE5EiNS0_10empty_typeEbEEZZNS1_14partition_implILS5_5ELb0ES3_mN6thrust23THRUST_200600_302600_NS17counting_iteratorIiNSA_11use_defaultESC_SC_EEPS6_NSA_18transform_iteratorINSA_8identityIiEENSA_6detail15normal_iteratorINSA_10device_ptrIiEEEESC_SC_EENS0_5tupleIJSM_S6_EEENSO_IJSE_SE_EEES6_PlJS6_EEE10hipError_tPvRmT3_T4_T5_T6_T7_T9_mT8_P12ihipStream_tbDpT10_ENKUlT_T0_E_clISt17integral_constantIbLb1EES1A_IbLb0EEEEDaS16_S17_EUlS16_E_NS1_11comp_targetILNS1_3genE0ELNS1_11target_archE4294967295ELNS1_3gpuE0ELNS1_3repE0EEENS1_30default_config_static_selectorELNS0_4arch9wavefront6targetE0EEEvT1_.has_indirect_call, 0
	.section	.AMDGPU.csdata,"",@progbits
; Kernel info:
; codeLenInByte = 0
; TotalNumSgprs: 0
; NumVgprs: 0
; ScratchSize: 0
; MemoryBound: 0
; FloatMode: 240
; IeeeMode: 1
; LDSByteSize: 0 bytes/workgroup (compile time only)
; SGPRBlocks: 0
; VGPRBlocks: 0
; NumSGPRsForWavesPerEU: 1
; NumVGPRsForWavesPerEU: 1
; Occupancy: 16
; WaveLimiterHint : 0
; COMPUTE_PGM_RSRC2:SCRATCH_EN: 0
; COMPUTE_PGM_RSRC2:USER_SGPR: 2
; COMPUTE_PGM_RSRC2:TRAP_HANDLER: 0
; COMPUTE_PGM_RSRC2:TGID_X_EN: 1
; COMPUTE_PGM_RSRC2:TGID_Y_EN: 0
; COMPUTE_PGM_RSRC2:TGID_Z_EN: 0
; COMPUTE_PGM_RSRC2:TIDIG_COMP_CNT: 0
	.section	.text._ZN7rocprim17ROCPRIM_400000_NS6detail17trampoline_kernelINS0_14default_configENS1_25partition_config_selectorILNS1_17partition_subalgoE5EiNS0_10empty_typeEbEEZZNS1_14partition_implILS5_5ELb0ES3_mN6thrust23THRUST_200600_302600_NS17counting_iteratorIiNSA_11use_defaultESC_SC_EEPS6_NSA_18transform_iteratorINSA_8identityIiEENSA_6detail15normal_iteratorINSA_10device_ptrIiEEEESC_SC_EENS0_5tupleIJSM_S6_EEENSO_IJSE_SE_EEES6_PlJS6_EEE10hipError_tPvRmT3_T4_T5_T6_T7_T9_mT8_P12ihipStream_tbDpT10_ENKUlT_T0_E_clISt17integral_constantIbLb1EES1A_IbLb0EEEEDaS16_S17_EUlS16_E_NS1_11comp_targetILNS1_3genE5ELNS1_11target_archE942ELNS1_3gpuE9ELNS1_3repE0EEENS1_30default_config_static_selectorELNS0_4arch9wavefront6targetE0EEEvT1_,"axG",@progbits,_ZN7rocprim17ROCPRIM_400000_NS6detail17trampoline_kernelINS0_14default_configENS1_25partition_config_selectorILNS1_17partition_subalgoE5EiNS0_10empty_typeEbEEZZNS1_14partition_implILS5_5ELb0ES3_mN6thrust23THRUST_200600_302600_NS17counting_iteratorIiNSA_11use_defaultESC_SC_EEPS6_NSA_18transform_iteratorINSA_8identityIiEENSA_6detail15normal_iteratorINSA_10device_ptrIiEEEESC_SC_EENS0_5tupleIJSM_S6_EEENSO_IJSE_SE_EEES6_PlJS6_EEE10hipError_tPvRmT3_T4_T5_T6_T7_T9_mT8_P12ihipStream_tbDpT10_ENKUlT_T0_E_clISt17integral_constantIbLb1EES1A_IbLb0EEEEDaS16_S17_EUlS16_E_NS1_11comp_targetILNS1_3genE5ELNS1_11target_archE942ELNS1_3gpuE9ELNS1_3repE0EEENS1_30default_config_static_selectorELNS0_4arch9wavefront6targetE0EEEvT1_,comdat
	.protected	_ZN7rocprim17ROCPRIM_400000_NS6detail17trampoline_kernelINS0_14default_configENS1_25partition_config_selectorILNS1_17partition_subalgoE5EiNS0_10empty_typeEbEEZZNS1_14partition_implILS5_5ELb0ES3_mN6thrust23THRUST_200600_302600_NS17counting_iteratorIiNSA_11use_defaultESC_SC_EEPS6_NSA_18transform_iteratorINSA_8identityIiEENSA_6detail15normal_iteratorINSA_10device_ptrIiEEEESC_SC_EENS0_5tupleIJSM_S6_EEENSO_IJSE_SE_EEES6_PlJS6_EEE10hipError_tPvRmT3_T4_T5_T6_T7_T9_mT8_P12ihipStream_tbDpT10_ENKUlT_T0_E_clISt17integral_constantIbLb1EES1A_IbLb0EEEEDaS16_S17_EUlS16_E_NS1_11comp_targetILNS1_3genE5ELNS1_11target_archE942ELNS1_3gpuE9ELNS1_3repE0EEENS1_30default_config_static_selectorELNS0_4arch9wavefront6targetE0EEEvT1_ ; -- Begin function _ZN7rocprim17ROCPRIM_400000_NS6detail17trampoline_kernelINS0_14default_configENS1_25partition_config_selectorILNS1_17partition_subalgoE5EiNS0_10empty_typeEbEEZZNS1_14partition_implILS5_5ELb0ES3_mN6thrust23THRUST_200600_302600_NS17counting_iteratorIiNSA_11use_defaultESC_SC_EEPS6_NSA_18transform_iteratorINSA_8identityIiEENSA_6detail15normal_iteratorINSA_10device_ptrIiEEEESC_SC_EENS0_5tupleIJSM_S6_EEENSO_IJSE_SE_EEES6_PlJS6_EEE10hipError_tPvRmT3_T4_T5_T6_T7_T9_mT8_P12ihipStream_tbDpT10_ENKUlT_T0_E_clISt17integral_constantIbLb1EES1A_IbLb0EEEEDaS16_S17_EUlS16_E_NS1_11comp_targetILNS1_3genE5ELNS1_11target_archE942ELNS1_3gpuE9ELNS1_3repE0EEENS1_30default_config_static_selectorELNS0_4arch9wavefront6targetE0EEEvT1_
	.globl	_ZN7rocprim17ROCPRIM_400000_NS6detail17trampoline_kernelINS0_14default_configENS1_25partition_config_selectorILNS1_17partition_subalgoE5EiNS0_10empty_typeEbEEZZNS1_14partition_implILS5_5ELb0ES3_mN6thrust23THRUST_200600_302600_NS17counting_iteratorIiNSA_11use_defaultESC_SC_EEPS6_NSA_18transform_iteratorINSA_8identityIiEENSA_6detail15normal_iteratorINSA_10device_ptrIiEEEESC_SC_EENS0_5tupleIJSM_S6_EEENSO_IJSE_SE_EEES6_PlJS6_EEE10hipError_tPvRmT3_T4_T5_T6_T7_T9_mT8_P12ihipStream_tbDpT10_ENKUlT_T0_E_clISt17integral_constantIbLb1EES1A_IbLb0EEEEDaS16_S17_EUlS16_E_NS1_11comp_targetILNS1_3genE5ELNS1_11target_archE942ELNS1_3gpuE9ELNS1_3repE0EEENS1_30default_config_static_selectorELNS0_4arch9wavefront6targetE0EEEvT1_
	.p2align	8
	.type	_ZN7rocprim17ROCPRIM_400000_NS6detail17trampoline_kernelINS0_14default_configENS1_25partition_config_selectorILNS1_17partition_subalgoE5EiNS0_10empty_typeEbEEZZNS1_14partition_implILS5_5ELb0ES3_mN6thrust23THRUST_200600_302600_NS17counting_iteratorIiNSA_11use_defaultESC_SC_EEPS6_NSA_18transform_iteratorINSA_8identityIiEENSA_6detail15normal_iteratorINSA_10device_ptrIiEEEESC_SC_EENS0_5tupleIJSM_S6_EEENSO_IJSE_SE_EEES6_PlJS6_EEE10hipError_tPvRmT3_T4_T5_T6_T7_T9_mT8_P12ihipStream_tbDpT10_ENKUlT_T0_E_clISt17integral_constantIbLb1EES1A_IbLb0EEEEDaS16_S17_EUlS16_E_NS1_11comp_targetILNS1_3genE5ELNS1_11target_archE942ELNS1_3gpuE9ELNS1_3repE0EEENS1_30default_config_static_selectorELNS0_4arch9wavefront6targetE0EEEvT1_,@function
_ZN7rocprim17ROCPRIM_400000_NS6detail17trampoline_kernelINS0_14default_configENS1_25partition_config_selectorILNS1_17partition_subalgoE5EiNS0_10empty_typeEbEEZZNS1_14partition_implILS5_5ELb0ES3_mN6thrust23THRUST_200600_302600_NS17counting_iteratorIiNSA_11use_defaultESC_SC_EEPS6_NSA_18transform_iteratorINSA_8identityIiEENSA_6detail15normal_iteratorINSA_10device_ptrIiEEEESC_SC_EENS0_5tupleIJSM_S6_EEENSO_IJSE_SE_EEES6_PlJS6_EEE10hipError_tPvRmT3_T4_T5_T6_T7_T9_mT8_P12ihipStream_tbDpT10_ENKUlT_T0_E_clISt17integral_constantIbLb1EES1A_IbLb0EEEEDaS16_S17_EUlS16_E_NS1_11comp_targetILNS1_3genE5ELNS1_11target_archE942ELNS1_3gpuE9ELNS1_3repE0EEENS1_30default_config_static_selectorELNS0_4arch9wavefront6targetE0EEEvT1_: ; @_ZN7rocprim17ROCPRIM_400000_NS6detail17trampoline_kernelINS0_14default_configENS1_25partition_config_selectorILNS1_17partition_subalgoE5EiNS0_10empty_typeEbEEZZNS1_14partition_implILS5_5ELb0ES3_mN6thrust23THRUST_200600_302600_NS17counting_iteratorIiNSA_11use_defaultESC_SC_EEPS6_NSA_18transform_iteratorINSA_8identityIiEENSA_6detail15normal_iteratorINSA_10device_ptrIiEEEESC_SC_EENS0_5tupleIJSM_S6_EEENSO_IJSE_SE_EEES6_PlJS6_EEE10hipError_tPvRmT3_T4_T5_T6_T7_T9_mT8_P12ihipStream_tbDpT10_ENKUlT_T0_E_clISt17integral_constantIbLb1EES1A_IbLb0EEEEDaS16_S17_EUlS16_E_NS1_11comp_targetILNS1_3genE5ELNS1_11target_archE942ELNS1_3gpuE9ELNS1_3repE0EEENS1_30default_config_static_selectorELNS0_4arch9wavefront6targetE0EEEvT1_
; %bb.0:
	.section	.rodata,"a",@progbits
	.p2align	6, 0x0
	.amdhsa_kernel _ZN7rocprim17ROCPRIM_400000_NS6detail17trampoline_kernelINS0_14default_configENS1_25partition_config_selectorILNS1_17partition_subalgoE5EiNS0_10empty_typeEbEEZZNS1_14partition_implILS5_5ELb0ES3_mN6thrust23THRUST_200600_302600_NS17counting_iteratorIiNSA_11use_defaultESC_SC_EEPS6_NSA_18transform_iteratorINSA_8identityIiEENSA_6detail15normal_iteratorINSA_10device_ptrIiEEEESC_SC_EENS0_5tupleIJSM_S6_EEENSO_IJSE_SE_EEES6_PlJS6_EEE10hipError_tPvRmT3_T4_T5_T6_T7_T9_mT8_P12ihipStream_tbDpT10_ENKUlT_T0_E_clISt17integral_constantIbLb1EES1A_IbLb0EEEEDaS16_S17_EUlS16_E_NS1_11comp_targetILNS1_3genE5ELNS1_11target_archE942ELNS1_3gpuE9ELNS1_3repE0EEENS1_30default_config_static_selectorELNS0_4arch9wavefront6targetE0EEEvT1_
		.amdhsa_group_segment_fixed_size 0
		.amdhsa_private_segment_fixed_size 0
		.amdhsa_kernarg_size 120
		.amdhsa_user_sgpr_count 2
		.amdhsa_user_sgpr_dispatch_ptr 0
		.amdhsa_user_sgpr_queue_ptr 0
		.amdhsa_user_sgpr_kernarg_segment_ptr 1
		.amdhsa_user_sgpr_dispatch_id 0
		.amdhsa_user_sgpr_private_segment_size 0
		.amdhsa_wavefront_size32 1
		.amdhsa_uses_dynamic_stack 0
		.amdhsa_enable_private_segment 0
		.amdhsa_system_sgpr_workgroup_id_x 1
		.amdhsa_system_sgpr_workgroup_id_y 0
		.amdhsa_system_sgpr_workgroup_id_z 0
		.amdhsa_system_sgpr_workgroup_info 0
		.amdhsa_system_vgpr_workitem_id 0
		.amdhsa_next_free_vgpr 1
		.amdhsa_next_free_sgpr 1
		.amdhsa_reserve_vcc 0
		.amdhsa_float_round_mode_32 0
		.amdhsa_float_round_mode_16_64 0
		.amdhsa_float_denorm_mode_32 3
		.amdhsa_float_denorm_mode_16_64 3
		.amdhsa_fp16_overflow 0
		.amdhsa_workgroup_processor_mode 1
		.amdhsa_memory_ordered 1
		.amdhsa_forward_progress 1
		.amdhsa_inst_pref_size 0
		.amdhsa_round_robin_scheduling 0
		.amdhsa_exception_fp_ieee_invalid_op 0
		.amdhsa_exception_fp_denorm_src 0
		.amdhsa_exception_fp_ieee_div_zero 0
		.amdhsa_exception_fp_ieee_overflow 0
		.amdhsa_exception_fp_ieee_underflow 0
		.amdhsa_exception_fp_ieee_inexact 0
		.amdhsa_exception_int_div_zero 0
	.end_amdhsa_kernel
	.section	.text._ZN7rocprim17ROCPRIM_400000_NS6detail17trampoline_kernelINS0_14default_configENS1_25partition_config_selectorILNS1_17partition_subalgoE5EiNS0_10empty_typeEbEEZZNS1_14partition_implILS5_5ELb0ES3_mN6thrust23THRUST_200600_302600_NS17counting_iteratorIiNSA_11use_defaultESC_SC_EEPS6_NSA_18transform_iteratorINSA_8identityIiEENSA_6detail15normal_iteratorINSA_10device_ptrIiEEEESC_SC_EENS0_5tupleIJSM_S6_EEENSO_IJSE_SE_EEES6_PlJS6_EEE10hipError_tPvRmT3_T4_T5_T6_T7_T9_mT8_P12ihipStream_tbDpT10_ENKUlT_T0_E_clISt17integral_constantIbLb1EES1A_IbLb0EEEEDaS16_S17_EUlS16_E_NS1_11comp_targetILNS1_3genE5ELNS1_11target_archE942ELNS1_3gpuE9ELNS1_3repE0EEENS1_30default_config_static_selectorELNS0_4arch9wavefront6targetE0EEEvT1_,"axG",@progbits,_ZN7rocprim17ROCPRIM_400000_NS6detail17trampoline_kernelINS0_14default_configENS1_25partition_config_selectorILNS1_17partition_subalgoE5EiNS0_10empty_typeEbEEZZNS1_14partition_implILS5_5ELb0ES3_mN6thrust23THRUST_200600_302600_NS17counting_iteratorIiNSA_11use_defaultESC_SC_EEPS6_NSA_18transform_iteratorINSA_8identityIiEENSA_6detail15normal_iteratorINSA_10device_ptrIiEEEESC_SC_EENS0_5tupleIJSM_S6_EEENSO_IJSE_SE_EEES6_PlJS6_EEE10hipError_tPvRmT3_T4_T5_T6_T7_T9_mT8_P12ihipStream_tbDpT10_ENKUlT_T0_E_clISt17integral_constantIbLb1EES1A_IbLb0EEEEDaS16_S17_EUlS16_E_NS1_11comp_targetILNS1_3genE5ELNS1_11target_archE942ELNS1_3gpuE9ELNS1_3repE0EEENS1_30default_config_static_selectorELNS0_4arch9wavefront6targetE0EEEvT1_,comdat
.Lfunc_end29:
	.size	_ZN7rocprim17ROCPRIM_400000_NS6detail17trampoline_kernelINS0_14default_configENS1_25partition_config_selectorILNS1_17partition_subalgoE5EiNS0_10empty_typeEbEEZZNS1_14partition_implILS5_5ELb0ES3_mN6thrust23THRUST_200600_302600_NS17counting_iteratorIiNSA_11use_defaultESC_SC_EEPS6_NSA_18transform_iteratorINSA_8identityIiEENSA_6detail15normal_iteratorINSA_10device_ptrIiEEEESC_SC_EENS0_5tupleIJSM_S6_EEENSO_IJSE_SE_EEES6_PlJS6_EEE10hipError_tPvRmT3_T4_T5_T6_T7_T9_mT8_P12ihipStream_tbDpT10_ENKUlT_T0_E_clISt17integral_constantIbLb1EES1A_IbLb0EEEEDaS16_S17_EUlS16_E_NS1_11comp_targetILNS1_3genE5ELNS1_11target_archE942ELNS1_3gpuE9ELNS1_3repE0EEENS1_30default_config_static_selectorELNS0_4arch9wavefront6targetE0EEEvT1_, .Lfunc_end29-_ZN7rocprim17ROCPRIM_400000_NS6detail17trampoline_kernelINS0_14default_configENS1_25partition_config_selectorILNS1_17partition_subalgoE5EiNS0_10empty_typeEbEEZZNS1_14partition_implILS5_5ELb0ES3_mN6thrust23THRUST_200600_302600_NS17counting_iteratorIiNSA_11use_defaultESC_SC_EEPS6_NSA_18transform_iteratorINSA_8identityIiEENSA_6detail15normal_iteratorINSA_10device_ptrIiEEEESC_SC_EENS0_5tupleIJSM_S6_EEENSO_IJSE_SE_EEES6_PlJS6_EEE10hipError_tPvRmT3_T4_T5_T6_T7_T9_mT8_P12ihipStream_tbDpT10_ENKUlT_T0_E_clISt17integral_constantIbLb1EES1A_IbLb0EEEEDaS16_S17_EUlS16_E_NS1_11comp_targetILNS1_3genE5ELNS1_11target_archE942ELNS1_3gpuE9ELNS1_3repE0EEENS1_30default_config_static_selectorELNS0_4arch9wavefront6targetE0EEEvT1_
                                        ; -- End function
	.set _ZN7rocprim17ROCPRIM_400000_NS6detail17trampoline_kernelINS0_14default_configENS1_25partition_config_selectorILNS1_17partition_subalgoE5EiNS0_10empty_typeEbEEZZNS1_14partition_implILS5_5ELb0ES3_mN6thrust23THRUST_200600_302600_NS17counting_iteratorIiNSA_11use_defaultESC_SC_EEPS6_NSA_18transform_iteratorINSA_8identityIiEENSA_6detail15normal_iteratorINSA_10device_ptrIiEEEESC_SC_EENS0_5tupleIJSM_S6_EEENSO_IJSE_SE_EEES6_PlJS6_EEE10hipError_tPvRmT3_T4_T5_T6_T7_T9_mT8_P12ihipStream_tbDpT10_ENKUlT_T0_E_clISt17integral_constantIbLb1EES1A_IbLb0EEEEDaS16_S17_EUlS16_E_NS1_11comp_targetILNS1_3genE5ELNS1_11target_archE942ELNS1_3gpuE9ELNS1_3repE0EEENS1_30default_config_static_selectorELNS0_4arch9wavefront6targetE0EEEvT1_.num_vgpr, 0
	.set _ZN7rocprim17ROCPRIM_400000_NS6detail17trampoline_kernelINS0_14default_configENS1_25partition_config_selectorILNS1_17partition_subalgoE5EiNS0_10empty_typeEbEEZZNS1_14partition_implILS5_5ELb0ES3_mN6thrust23THRUST_200600_302600_NS17counting_iteratorIiNSA_11use_defaultESC_SC_EEPS6_NSA_18transform_iteratorINSA_8identityIiEENSA_6detail15normal_iteratorINSA_10device_ptrIiEEEESC_SC_EENS0_5tupleIJSM_S6_EEENSO_IJSE_SE_EEES6_PlJS6_EEE10hipError_tPvRmT3_T4_T5_T6_T7_T9_mT8_P12ihipStream_tbDpT10_ENKUlT_T0_E_clISt17integral_constantIbLb1EES1A_IbLb0EEEEDaS16_S17_EUlS16_E_NS1_11comp_targetILNS1_3genE5ELNS1_11target_archE942ELNS1_3gpuE9ELNS1_3repE0EEENS1_30default_config_static_selectorELNS0_4arch9wavefront6targetE0EEEvT1_.num_agpr, 0
	.set _ZN7rocprim17ROCPRIM_400000_NS6detail17trampoline_kernelINS0_14default_configENS1_25partition_config_selectorILNS1_17partition_subalgoE5EiNS0_10empty_typeEbEEZZNS1_14partition_implILS5_5ELb0ES3_mN6thrust23THRUST_200600_302600_NS17counting_iteratorIiNSA_11use_defaultESC_SC_EEPS6_NSA_18transform_iteratorINSA_8identityIiEENSA_6detail15normal_iteratorINSA_10device_ptrIiEEEESC_SC_EENS0_5tupleIJSM_S6_EEENSO_IJSE_SE_EEES6_PlJS6_EEE10hipError_tPvRmT3_T4_T5_T6_T7_T9_mT8_P12ihipStream_tbDpT10_ENKUlT_T0_E_clISt17integral_constantIbLb1EES1A_IbLb0EEEEDaS16_S17_EUlS16_E_NS1_11comp_targetILNS1_3genE5ELNS1_11target_archE942ELNS1_3gpuE9ELNS1_3repE0EEENS1_30default_config_static_selectorELNS0_4arch9wavefront6targetE0EEEvT1_.numbered_sgpr, 0
	.set _ZN7rocprim17ROCPRIM_400000_NS6detail17trampoline_kernelINS0_14default_configENS1_25partition_config_selectorILNS1_17partition_subalgoE5EiNS0_10empty_typeEbEEZZNS1_14partition_implILS5_5ELb0ES3_mN6thrust23THRUST_200600_302600_NS17counting_iteratorIiNSA_11use_defaultESC_SC_EEPS6_NSA_18transform_iteratorINSA_8identityIiEENSA_6detail15normal_iteratorINSA_10device_ptrIiEEEESC_SC_EENS0_5tupleIJSM_S6_EEENSO_IJSE_SE_EEES6_PlJS6_EEE10hipError_tPvRmT3_T4_T5_T6_T7_T9_mT8_P12ihipStream_tbDpT10_ENKUlT_T0_E_clISt17integral_constantIbLb1EES1A_IbLb0EEEEDaS16_S17_EUlS16_E_NS1_11comp_targetILNS1_3genE5ELNS1_11target_archE942ELNS1_3gpuE9ELNS1_3repE0EEENS1_30default_config_static_selectorELNS0_4arch9wavefront6targetE0EEEvT1_.num_named_barrier, 0
	.set _ZN7rocprim17ROCPRIM_400000_NS6detail17trampoline_kernelINS0_14default_configENS1_25partition_config_selectorILNS1_17partition_subalgoE5EiNS0_10empty_typeEbEEZZNS1_14partition_implILS5_5ELb0ES3_mN6thrust23THRUST_200600_302600_NS17counting_iteratorIiNSA_11use_defaultESC_SC_EEPS6_NSA_18transform_iteratorINSA_8identityIiEENSA_6detail15normal_iteratorINSA_10device_ptrIiEEEESC_SC_EENS0_5tupleIJSM_S6_EEENSO_IJSE_SE_EEES6_PlJS6_EEE10hipError_tPvRmT3_T4_T5_T6_T7_T9_mT8_P12ihipStream_tbDpT10_ENKUlT_T0_E_clISt17integral_constantIbLb1EES1A_IbLb0EEEEDaS16_S17_EUlS16_E_NS1_11comp_targetILNS1_3genE5ELNS1_11target_archE942ELNS1_3gpuE9ELNS1_3repE0EEENS1_30default_config_static_selectorELNS0_4arch9wavefront6targetE0EEEvT1_.private_seg_size, 0
	.set _ZN7rocprim17ROCPRIM_400000_NS6detail17trampoline_kernelINS0_14default_configENS1_25partition_config_selectorILNS1_17partition_subalgoE5EiNS0_10empty_typeEbEEZZNS1_14partition_implILS5_5ELb0ES3_mN6thrust23THRUST_200600_302600_NS17counting_iteratorIiNSA_11use_defaultESC_SC_EEPS6_NSA_18transform_iteratorINSA_8identityIiEENSA_6detail15normal_iteratorINSA_10device_ptrIiEEEESC_SC_EENS0_5tupleIJSM_S6_EEENSO_IJSE_SE_EEES6_PlJS6_EEE10hipError_tPvRmT3_T4_T5_T6_T7_T9_mT8_P12ihipStream_tbDpT10_ENKUlT_T0_E_clISt17integral_constantIbLb1EES1A_IbLb0EEEEDaS16_S17_EUlS16_E_NS1_11comp_targetILNS1_3genE5ELNS1_11target_archE942ELNS1_3gpuE9ELNS1_3repE0EEENS1_30default_config_static_selectorELNS0_4arch9wavefront6targetE0EEEvT1_.uses_vcc, 0
	.set _ZN7rocprim17ROCPRIM_400000_NS6detail17trampoline_kernelINS0_14default_configENS1_25partition_config_selectorILNS1_17partition_subalgoE5EiNS0_10empty_typeEbEEZZNS1_14partition_implILS5_5ELb0ES3_mN6thrust23THRUST_200600_302600_NS17counting_iteratorIiNSA_11use_defaultESC_SC_EEPS6_NSA_18transform_iteratorINSA_8identityIiEENSA_6detail15normal_iteratorINSA_10device_ptrIiEEEESC_SC_EENS0_5tupleIJSM_S6_EEENSO_IJSE_SE_EEES6_PlJS6_EEE10hipError_tPvRmT3_T4_T5_T6_T7_T9_mT8_P12ihipStream_tbDpT10_ENKUlT_T0_E_clISt17integral_constantIbLb1EES1A_IbLb0EEEEDaS16_S17_EUlS16_E_NS1_11comp_targetILNS1_3genE5ELNS1_11target_archE942ELNS1_3gpuE9ELNS1_3repE0EEENS1_30default_config_static_selectorELNS0_4arch9wavefront6targetE0EEEvT1_.uses_flat_scratch, 0
	.set _ZN7rocprim17ROCPRIM_400000_NS6detail17trampoline_kernelINS0_14default_configENS1_25partition_config_selectorILNS1_17partition_subalgoE5EiNS0_10empty_typeEbEEZZNS1_14partition_implILS5_5ELb0ES3_mN6thrust23THRUST_200600_302600_NS17counting_iteratorIiNSA_11use_defaultESC_SC_EEPS6_NSA_18transform_iteratorINSA_8identityIiEENSA_6detail15normal_iteratorINSA_10device_ptrIiEEEESC_SC_EENS0_5tupleIJSM_S6_EEENSO_IJSE_SE_EEES6_PlJS6_EEE10hipError_tPvRmT3_T4_T5_T6_T7_T9_mT8_P12ihipStream_tbDpT10_ENKUlT_T0_E_clISt17integral_constantIbLb1EES1A_IbLb0EEEEDaS16_S17_EUlS16_E_NS1_11comp_targetILNS1_3genE5ELNS1_11target_archE942ELNS1_3gpuE9ELNS1_3repE0EEENS1_30default_config_static_selectorELNS0_4arch9wavefront6targetE0EEEvT1_.has_dyn_sized_stack, 0
	.set _ZN7rocprim17ROCPRIM_400000_NS6detail17trampoline_kernelINS0_14default_configENS1_25partition_config_selectorILNS1_17partition_subalgoE5EiNS0_10empty_typeEbEEZZNS1_14partition_implILS5_5ELb0ES3_mN6thrust23THRUST_200600_302600_NS17counting_iteratorIiNSA_11use_defaultESC_SC_EEPS6_NSA_18transform_iteratorINSA_8identityIiEENSA_6detail15normal_iteratorINSA_10device_ptrIiEEEESC_SC_EENS0_5tupleIJSM_S6_EEENSO_IJSE_SE_EEES6_PlJS6_EEE10hipError_tPvRmT3_T4_T5_T6_T7_T9_mT8_P12ihipStream_tbDpT10_ENKUlT_T0_E_clISt17integral_constantIbLb1EES1A_IbLb0EEEEDaS16_S17_EUlS16_E_NS1_11comp_targetILNS1_3genE5ELNS1_11target_archE942ELNS1_3gpuE9ELNS1_3repE0EEENS1_30default_config_static_selectorELNS0_4arch9wavefront6targetE0EEEvT1_.has_recursion, 0
	.set _ZN7rocprim17ROCPRIM_400000_NS6detail17trampoline_kernelINS0_14default_configENS1_25partition_config_selectorILNS1_17partition_subalgoE5EiNS0_10empty_typeEbEEZZNS1_14partition_implILS5_5ELb0ES3_mN6thrust23THRUST_200600_302600_NS17counting_iteratorIiNSA_11use_defaultESC_SC_EEPS6_NSA_18transform_iteratorINSA_8identityIiEENSA_6detail15normal_iteratorINSA_10device_ptrIiEEEESC_SC_EENS0_5tupleIJSM_S6_EEENSO_IJSE_SE_EEES6_PlJS6_EEE10hipError_tPvRmT3_T4_T5_T6_T7_T9_mT8_P12ihipStream_tbDpT10_ENKUlT_T0_E_clISt17integral_constantIbLb1EES1A_IbLb0EEEEDaS16_S17_EUlS16_E_NS1_11comp_targetILNS1_3genE5ELNS1_11target_archE942ELNS1_3gpuE9ELNS1_3repE0EEENS1_30default_config_static_selectorELNS0_4arch9wavefront6targetE0EEEvT1_.has_indirect_call, 0
	.section	.AMDGPU.csdata,"",@progbits
; Kernel info:
; codeLenInByte = 0
; TotalNumSgprs: 0
; NumVgprs: 0
; ScratchSize: 0
; MemoryBound: 0
; FloatMode: 240
; IeeeMode: 1
; LDSByteSize: 0 bytes/workgroup (compile time only)
; SGPRBlocks: 0
; VGPRBlocks: 0
; NumSGPRsForWavesPerEU: 1
; NumVGPRsForWavesPerEU: 1
; Occupancy: 16
; WaveLimiterHint : 0
; COMPUTE_PGM_RSRC2:SCRATCH_EN: 0
; COMPUTE_PGM_RSRC2:USER_SGPR: 2
; COMPUTE_PGM_RSRC2:TRAP_HANDLER: 0
; COMPUTE_PGM_RSRC2:TGID_X_EN: 1
; COMPUTE_PGM_RSRC2:TGID_Y_EN: 0
; COMPUTE_PGM_RSRC2:TGID_Z_EN: 0
; COMPUTE_PGM_RSRC2:TIDIG_COMP_CNT: 0
	.section	.text._ZN7rocprim17ROCPRIM_400000_NS6detail17trampoline_kernelINS0_14default_configENS1_25partition_config_selectorILNS1_17partition_subalgoE5EiNS0_10empty_typeEbEEZZNS1_14partition_implILS5_5ELb0ES3_mN6thrust23THRUST_200600_302600_NS17counting_iteratorIiNSA_11use_defaultESC_SC_EEPS6_NSA_18transform_iteratorINSA_8identityIiEENSA_6detail15normal_iteratorINSA_10device_ptrIiEEEESC_SC_EENS0_5tupleIJSM_S6_EEENSO_IJSE_SE_EEES6_PlJS6_EEE10hipError_tPvRmT3_T4_T5_T6_T7_T9_mT8_P12ihipStream_tbDpT10_ENKUlT_T0_E_clISt17integral_constantIbLb1EES1A_IbLb0EEEEDaS16_S17_EUlS16_E_NS1_11comp_targetILNS1_3genE4ELNS1_11target_archE910ELNS1_3gpuE8ELNS1_3repE0EEENS1_30default_config_static_selectorELNS0_4arch9wavefront6targetE0EEEvT1_,"axG",@progbits,_ZN7rocprim17ROCPRIM_400000_NS6detail17trampoline_kernelINS0_14default_configENS1_25partition_config_selectorILNS1_17partition_subalgoE5EiNS0_10empty_typeEbEEZZNS1_14partition_implILS5_5ELb0ES3_mN6thrust23THRUST_200600_302600_NS17counting_iteratorIiNSA_11use_defaultESC_SC_EEPS6_NSA_18transform_iteratorINSA_8identityIiEENSA_6detail15normal_iteratorINSA_10device_ptrIiEEEESC_SC_EENS0_5tupleIJSM_S6_EEENSO_IJSE_SE_EEES6_PlJS6_EEE10hipError_tPvRmT3_T4_T5_T6_T7_T9_mT8_P12ihipStream_tbDpT10_ENKUlT_T0_E_clISt17integral_constantIbLb1EES1A_IbLb0EEEEDaS16_S17_EUlS16_E_NS1_11comp_targetILNS1_3genE4ELNS1_11target_archE910ELNS1_3gpuE8ELNS1_3repE0EEENS1_30default_config_static_selectorELNS0_4arch9wavefront6targetE0EEEvT1_,comdat
	.protected	_ZN7rocprim17ROCPRIM_400000_NS6detail17trampoline_kernelINS0_14default_configENS1_25partition_config_selectorILNS1_17partition_subalgoE5EiNS0_10empty_typeEbEEZZNS1_14partition_implILS5_5ELb0ES3_mN6thrust23THRUST_200600_302600_NS17counting_iteratorIiNSA_11use_defaultESC_SC_EEPS6_NSA_18transform_iteratorINSA_8identityIiEENSA_6detail15normal_iteratorINSA_10device_ptrIiEEEESC_SC_EENS0_5tupleIJSM_S6_EEENSO_IJSE_SE_EEES6_PlJS6_EEE10hipError_tPvRmT3_T4_T5_T6_T7_T9_mT8_P12ihipStream_tbDpT10_ENKUlT_T0_E_clISt17integral_constantIbLb1EES1A_IbLb0EEEEDaS16_S17_EUlS16_E_NS1_11comp_targetILNS1_3genE4ELNS1_11target_archE910ELNS1_3gpuE8ELNS1_3repE0EEENS1_30default_config_static_selectorELNS0_4arch9wavefront6targetE0EEEvT1_ ; -- Begin function _ZN7rocprim17ROCPRIM_400000_NS6detail17trampoline_kernelINS0_14default_configENS1_25partition_config_selectorILNS1_17partition_subalgoE5EiNS0_10empty_typeEbEEZZNS1_14partition_implILS5_5ELb0ES3_mN6thrust23THRUST_200600_302600_NS17counting_iteratorIiNSA_11use_defaultESC_SC_EEPS6_NSA_18transform_iteratorINSA_8identityIiEENSA_6detail15normal_iteratorINSA_10device_ptrIiEEEESC_SC_EENS0_5tupleIJSM_S6_EEENSO_IJSE_SE_EEES6_PlJS6_EEE10hipError_tPvRmT3_T4_T5_T6_T7_T9_mT8_P12ihipStream_tbDpT10_ENKUlT_T0_E_clISt17integral_constantIbLb1EES1A_IbLb0EEEEDaS16_S17_EUlS16_E_NS1_11comp_targetILNS1_3genE4ELNS1_11target_archE910ELNS1_3gpuE8ELNS1_3repE0EEENS1_30default_config_static_selectorELNS0_4arch9wavefront6targetE0EEEvT1_
	.globl	_ZN7rocprim17ROCPRIM_400000_NS6detail17trampoline_kernelINS0_14default_configENS1_25partition_config_selectorILNS1_17partition_subalgoE5EiNS0_10empty_typeEbEEZZNS1_14partition_implILS5_5ELb0ES3_mN6thrust23THRUST_200600_302600_NS17counting_iteratorIiNSA_11use_defaultESC_SC_EEPS6_NSA_18transform_iteratorINSA_8identityIiEENSA_6detail15normal_iteratorINSA_10device_ptrIiEEEESC_SC_EENS0_5tupleIJSM_S6_EEENSO_IJSE_SE_EEES6_PlJS6_EEE10hipError_tPvRmT3_T4_T5_T6_T7_T9_mT8_P12ihipStream_tbDpT10_ENKUlT_T0_E_clISt17integral_constantIbLb1EES1A_IbLb0EEEEDaS16_S17_EUlS16_E_NS1_11comp_targetILNS1_3genE4ELNS1_11target_archE910ELNS1_3gpuE8ELNS1_3repE0EEENS1_30default_config_static_selectorELNS0_4arch9wavefront6targetE0EEEvT1_
	.p2align	8
	.type	_ZN7rocprim17ROCPRIM_400000_NS6detail17trampoline_kernelINS0_14default_configENS1_25partition_config_selectorILNS1_17partition_subalgoE5EiNS0_10empty_typeEbEEZZNS1_14partition_implILS5_5ELb0ES3_mN6thrust23THRUST_200600_302600_NS17counting_iteratorIiNSA_11use_defaultESC_SC_EEPS6_NSA_18transform_iteratorINSA_8identityIiEENSA_6detail15normal_iteratorINSA_10device_ptrIiEEEESC_SC_EENS0_5tupleIJSM_S6_EEENSO_IJSE_SE_EEES6_PlJS6_EEE10hipError_tPvRmT3_T4_T5_T6_T7_T9_mT8_P12ihipStream_tbDpT10_ENKUlT_T0_E_clISt17integral_constantIbLb1EES1A_IbLb0EEEEDaS16_S17_EUlS16_E_NS1_11comp_targetILNS1_3genE4ELNS1_11target_archE910ELNS1_3gpuE8ELNS1_3repE0EEENS1_30default_config_static_selectorELNS0_4arch9wavefront6targetE0EEEvT1_,@function
_ZN7rocprim17ROCPRIM_400000_NS6detail17trampoline_kernelINS0_14default_configENS1_25partition_config_selectorILNS1_17partition_subalgoE5EiNS0_10empty_typeEbEEZZNS1_14partition_implILS5_5ELb0ES3_mN6thrust23THRUST_200600_302600_NS17counting_iteratorIiNSA_11use_defaultESC_SC_EEPS6_NSA_18transform_iteratorINSA_8identityIiEENSA_6detail15normal_iteratorINSA_10device_ptrIiEEEESC_SC_EENS0_5tupleIJSM_S6_EEENSO_IJSE_SE_EEES6_PlJS6_EEE10hipError_tPvRmT3_T4_T5_T6_T7_T9_mT8_P12ihipStream_tbDpT10_ENKUlT_T0_E_clISt17integral_constantIbLb1EES1A_IbLb0EEEEDaS16_S17_EUlS16_E_NS1_11comp_targetILNS1_3genE4ELNS1_11target_archE910ELNS1_3gpuE8ELNS1_3repE0EEENS1_30default_config_static_selectorELNS0_4arch9wavefront6targetE0EEEvT1_: ; @_ZN7rocprim17ROCPRIM_400000_NS6detail17trampoline_kernelINS0_14default_configENS1_25partition_config_selectorILNS1_17partition_subalgoE5EiNS0_10empty_typeEbEEZZNS1_14partition_implILS5_5ELb0ES3_mN6thrust23THRUST_200600_302600_NS17counting_iteratorIiNSA_11use_defaultESC_SC_EEPS6_NSA_18transform_iteratorINSA_8identityIiEENSA_6detail15normal_iteratorINSA_10device_ptrIiEEEESC_SC_EENS0_5tupleIJSM_S6_EEENSO_IJSE_SE_EEES6_PlJS6_EEE10hipError_tPvRmT3_T4_T5_T6_T7_T9_mT8_P12ihipStream_tbDpT10_ENKUlT_T0_E_clISt17integral_constantIbLb1EES1A_IbLb0EEEEDaS16_S17_EUlS16_E_NS1_11comp_targetILNS1_3genE4ELNS1_11target_archE910ELNS1_3gpuE8ELNS1_3repE0EEENS1_30default_config_static_selectorELNS0_4arch9wavefront6targetE0EEEvT1_
; %bb.0:
	.section	.rodata,"a",@progbits
	.p2align	6, 0x0
	.amdhsa_kernel _ZN7rocprim17ROCPRIM_400000_NS6detail17trampoline_kernelINS0_14default_configENS1_25partition_config_selectorILNS1_17partition_subalgoE5EiNS0_10empty_typeEbEEZZNS1_14partition_implILS5_5ELb0ES3_mN6thrust23THRUST_200600_302600_NS17counting_iteratorIiNSA_11use_defaultESC_SC_EEPS6_NSA_18transform_iteratorINSA_8identityIiEENSA_6detail15normal_iteratorINSA_10device_ptrIiEEEESC_SC_EENS0_5tupleIJSM_S6_EEENSO_IJSE_SE_EEES6_PlJS6_EEE10hipError_tPvRmT3_T4_T5_T6_T7_T9_mT8_P12ihipStream_tbDpT10_ENKUlT_T0_E_clISt17integral_constantIbLb1EES1A_IbLb0EEEEDaS16_S17_EUlS16_E_NS1_11comp_targetILNS1_3genE4ELNS1_11target_archE910ELNS1_3gpuE8ELNS1_3repE0EEENS1_30default_config_static_selectorELNS0_4arch9wavefront6targetE0EEEvT1_
		.amdhsa_group_segment_fixed_size 0
		.amdhsa_private_segment_fixed_size 0
		.amdhsa_kernarg_size 120
		.amdhsa_user_sgpr_count 2
		.amdhsa_user_sgpr_dispatch_ptr 0
		.amdhsa_user_sgpr_queue_ptr 0
		.amdhsa_user_sgpr_kernarg_segment_ptr 1
		.amdhsa_user_sgpr_dispatch_id 0
		.amdhsa_user_sgpr_private_segment_size 0
		.amdhsa_wavefront_size32 1
		.amdhsa_uses_dynamic_stack 0
		.amdhsa_enable_private_segment 0
		.amdhsa_system_sgpr_workgroup_id_x 1
		.amdhsa_system_sgpr_workgroup_id_y 0
		.amdhsa_system_sgpr_workgroup_id_z 0
		.amdhsa_system_sgpr_workgroup_info 0
		.amdhsa_system_vgpr_workitem_id 0
		.amdhsa_next_free_vgpr 1
		.amdhsa_next_free_sgpr 1
		.amdhsa_reserve_vcc 0
		.amdhsa_float_round_mode_32 0
		.amdhsa_float_round_mode_16_64 0
		.amdhsa_float_denorm_mode_32 3
		.amdhsa_float_denorm_mode_16_64 3
		.amdhsa_fp16_overflow 0
		.amdhsa_workgroup_processor_mode 1
		.amdhsa_memory_ordered 1
		.amdhsa_forward_progress 1
		.amdhsa_inst_pref_size 0
		.amdhsa_round_robin_scheduling 0
		.amdhsa_exception_fp_ieee_invalid_op 0
		.amdhsa_exception_fp_denorm_src 0
		.amdhsa_exception_fp_ieee_div_zero 0
		.amdhsa_exception_fp_ieee_overflow 0
		.amdhsa_exception_fp_ieee_underflow 0
		.amdhsa_exception_fp_ieee_inexact 0
		.amdhsa_exception_int_div_zero 0
	.end_amdhsa_kernel
	.section	.text._ZN7rocprim17ROCPRIM_400000_NS6detail17trampoline_kernelINS0_14default_configENS1_25partition_config_selectorILNS1_17partition_subalgoE5EiNS0_10empty_typeEbEEZZNS1_14partition_implILS5_5ELb0ES3_mN6thrust23THRUST_200600_302600_NS17counting_iteratorIiNSA_11use_defaultESC_SC_EEPS6_NSA_18transform_iteratorINSA_8identityIiEENSA_6detail15normal_iteratorINSA_10device_ptrIiEEEESC_SC_EENS0_5tupleIJSM_S6_EEENSO_IJSE_SE_EEES6_PlJS6_EEE10hipError_tPvRmT3_T4_T5_T6_T7_T9_mT8_P12ihipStream_tbDpT10_ENKUlT_T0_E_clISt17integral_constantIbLb1EES1A_IbLb0EEEEDaS16_S17_EUlS16_E_NS1_11comp_targetILNS1_3genE4ELNS1_11target_archE910ELNS1_3gpuE8ELNS1_3repE0EEENS1_30default_config_static_selectorELNS0_4arch9wavefront6targetE0EEEvT1_,"axG",@progbits,_ZN7rocprim17ROCPRIM_400000_NS6detail17trampoline_kernelINS0_14default_configENS1_25partition_config_selectorILNS1_17partition_subalgoE5EiNS0_10empty_typeEbEEZZNS1_14partition_implILS5_5ELb0ES3_mN6thrust23THRUST_200600_302600_NS17counting_iteratorIiNSA_11use_defaultESC_SC_EEPS6_NSA_18transform_iteratorINSA_8identityIiEENSA_6detail15normal_iteratorINSA_10device_ptrIiEEEESC_SC_EENS0_5tupleIJSM_S6_EEENSO_IJSE_SE_EEES6_PlJS6_EEE10hipError_tPvRmT3_T4_T5_T6_T7_T9_mT8_P12ihipStream_tbDpT10_ENKUlT_T0_E_clISt17integral_constantIbLb1EES1A_IbLb0EEEEDaS16_S17_EUlS16_E_NS1_11comp_targetILNS1_3genE4ELNS1_11target_archE910ELNS1_3gpuE8ELNS1_3repE0EEENS1_30default_config_static_selectorELNS0_4arch9wavefront6targetE0EEEvT1_,comdat
.Lfunc_end30:
	.size	_ZN7rocprim17ROCPRIM_400000_NS6detail17trampoline_kernelINS0_14default_configENS1_25partition_config_selectorILNS1_17partition_subalgoE5EiNS0_10empty_typeEbEEZZNS1_14partition_implILS5_5ELb0ES3_mN6thrust23THRUST_200600_302600_NS17counting_iteratorIiNSA_11use_defaultESC_SC_EEPS6_NSA_18transform_iteratorINSA_8identityIiEENSA_6detail15normal_iteratorINSA_10device_ptrIiEEEESC_SC_EENS0_5tupleIJSM_S6_EEENSO_IJSE_SE_EEES6_PlJS6_EEE10hipError_tPvRmT3_T4_T5_T6_T7_T9_mT8_P12ihipStream_tbDpT10_ENKUlT_T0_E_clISt17integral_constantIbLb1EES1A_IbLb0EEEEDaS16_S17_EUlS16_E_NS1_11comp_targetILNS1_3genE4ELNS1_11target_archE910ELNS1_3gpuE8ELNS1_3repE0EEENS1_30default_config_static_selectorELNS0_4arch9wavefront6targetE0EEEvT1_, .Lfunc_end30-_ZN7rocprim17ROCPRIM_400000_NS6detail17trampoline_kernelINS0_14default_configENS1_25partition_config_selectorILNS1_17partition_subalgoE5EiNS0_10empty_typeEbEEZZNS1_14partition_implILS5_5ELb0ES3_mN6thrust23THRUST_200600_302600_NS17counting_iteratorIiNSA_11use_defaultESC_SC_EEPS6_NSA_18transform_iteratorINSA_8identityIiEENSA_6detail15normal_iteratorINSA_10device_ptrIiEEEESC_SC_EENS0_5tupleIJSM_S6_EEENSO_IJSE_SE_EEES6_PlJS6_EEE10hipError_tPvRmT3_T4_T5_T6_T7_T9_mT8_P12ihipStream_tbDpT10_ENKUlT_T0_E_clISt17integral_constantIbLb1EES1A_IbLb0EEEEDaS16_S17_EUlS16_E_NS1_11comp_targetILNS1_3genE4ELNS1_11target_archE910ELNS1_3gpuE8ELNS1_3repE0EEENS1_30default_config_static_selectorELNS0_4arch9wavefront6targetE0EEEvT1_
                                        ; -- End function
	.set _ZN7rocprim17ROCPRIM_400000_NS6detail17trampoline_kernelINS0_14default_configENS1_25partition_config_selectorILNS1_17partition_subalgoE5EiNS0_10empty_typeEbEEZZNS1_14partition_implILS5_5ELb0ES3_mN6thrust23THRUST_200600_302600_NS17counting_iteratorIiNSA_11use_defaultESC_SC_EEPS6_NSA_18transform_iteratorINSA_8identityIiEENSA_6detail15normal_iteratorINSA_10device_ptrIiEEEESC_SC_EENS0_5tupleIJSM_S6_EEENSO_IJSE_SE_EEES6_PlJS6_EEE10hipError_tPvRmT3_T4_T5_T6_T7_T9_mT8_P12ihipStream_tbDpT10_ENKUlT_T0_E_clISt17integral_constantIbLb1EES1A_IbLb0EEEEDaS16_S17_EUlS16_E_NS1_11comp_targetILNS1_3genE4ELNS1_11target_archE910ELNS1_3gpuE8ELNS1_3repE0EEENS1_30default_config_static_selectorELNS0_4arch9wavefront6targetE0EEEvT1_.num_vgpr, 0
	.set _ZN7rocprim17ROCPRIM_400000_NS6detail17trampoline_kernelINS0_14default_configENS1_25partition_config_selectorILNS1_17partition_subalgoE5EiNS0_10empty_typeEbEEZZNS1_14partition_implILS5_5ELb0ES3_mN6thrust23THRUST_200600_302600_NS17counting_iteratorIiNSA_11use_defaultESC_SC_EEPS6_NSA_18transform_iteratorINSA_8identityIiEENSA_6detail15normal_iteratorINSA_10device_ptrIiEEEESC_SC_EENS0_5tupleIJSM_S6_EEENSO_IJSE_SE_EEES6_PlJS6_EEE10hipError_tPvRmT3_T4_T5_T6_T7_T9_mT8_P12ihipStream_tbDpT10_ENKUlT_T0_E_clISt17integral_constantIbLb1EES1A_IbLb0EEEEDaS16_S17_EUlS16_E_NS1_11comp_targetILNS1_3genE4ELNS1_11target_archE910ELNS1_3gpuE8ELNS1_3repE0EEENS1_30default_config_static_selectorELNS0_4arch9wavefront6targetE0EEEvT1_.num_agpr, 0
	.set _ZN7rocprim17ROCPRIM_400000_NS6detail17trampoline_kernelINS0_14default_configENS1_25partition_config_selectorILNS1_17partition_subalgoE5EiNS0_10empty_typeEbEEZZNS1_14partition_implILS5_5ELb0ES3_mN6thrust23THRUST_200600_302600_NS17counting_iteratorIiNSA_11use_defaultESC_SC_EEPS6_NSA_18transform_iteratorINSA_8identityIiEENSA_6detail15normal_iteratorINSA_10device_ptrIiEEEESC_SC_EENS0_5tupleIJSM_S6_EEENSO_IJSE_SE_EEES6_PlJS6_EEE10hipError_tPvRmT3_T4_T5_T6_T7_T9_mT8_P12ihipStream_tbDpT10_ENKUlT_T0_E_clISt17integral_constantIbLb1EES1A_IbLb0EEEEDaS16_S17_EUlS16_E_NS1_11comp_targetILNS1_3genE4ELNS1_11target_archE910ELNS1_3gpuE8ELNS1_3repE0EEENS1_30default_config_static_selectorELNS0_4arch9wavefront6targetE0EEEvT1_.numbered_sgpr, 0
	.set _ZN7rocprim17ROCPRIM_400000_NS6detail17trampoline_kernelINS0_14default_configENS1_25partition_config_selectorILNS1_17partition_subalgoE5EiNS0_10empty_typeEbEEZZNS1_14partition_implILS5_5ELb0ES3_mN6thrust23THRUST_200600_302600_NS17counting_iteratorIiNSA_11use_defaultESC_SC_EEPS6_NSA_18transform_iteratorINSA_8identityIiEENSA_6detail15normal_iteratorINSA_10device_ptrIiEEEESC_SC_EENS0_5tupleIJSM_S6_EEENSO_IJSE_SE_EEES6_PlJS6_EEE10hipError_tPvRmT3_T4_T5_T6_T7_T9_mT8_P12ihipStream_tbDpT10_ENKUlT_T0_E_clISt17integral_constantIbLb1EES1A_IbLb0EEEEDaS16_S17_EUlS16_E_NS1_11comp_targetILNS1_3genE4ELNS1_11target_archE910ELNS1_3gpuE8ELNS1_3repE0EEENS1_30default_config_static_selectorELNS0_4arch9wavefront6targetE0EEEvT1_.num_named_barrier, 0
	.set _ZN7rocprim17ROCPRIM_400000_NS6detail17trampoline_kernelINS0_14default_configENS1_25partition_config_selectorILNS1_17partition_subalgoE5EiNS0_10empty_typeEbEEZZNS1_14partition_implILS5_5ELb0ES3_mN6thrust23THRUST_200600_302600_NS17counting_iteratorIiNSA_11use_defaultESC_SC_EEPS6_NSA_18transform_iteratorINSA_8identityIiEENSA_6detail15normal_iteratorINSA_10device_ptrIiEEEESC_SC_EENS0_5tupleIJSM_S6_EEENSO_IJSE_SE_EEES6_PlJS6_EEE10hipError_tPvRmT3_T4_T5_T6_T7_T9_mT8_P12ihipStream_tbDpT10_ENKUlT_T0_E_clISt17integral_constantIbLb1EES1A_IbLb0EEEEDaS16_S17_EUlS16_E_NS1_11comp_targetILNS1_3genE4ELNS1_11target_archE910ELNS1_3gpuE8ELNS1_3repE0EEENS1_30default_config_static_selectorELNS0_4arch9wavefront6targetE0EEEvT1_.private_seg_size, 0
	.set _ZN7rocprim17ROCPRIM_400000_NS6detail17trampoline_kernelINS0_14default_configENS1_25partition_config_selectorILNS1_17partition_subalgoE5EiNS0_10empty_typeEbEEZZNS1_14partition_implILS5_5ELb0ES3_mN6thrust23THRUST_200600_302600_NS17counting_iteratorIiNSA_11use_defaultESC_SC_EEPS6_NSA_18transform_iteratorINSA_8identityIiEENSA_6detail15normal_iteratorINSA_10device_ptrIiEEEESC_SC_EENS0_5tupleIJSM_S6_EEENSO_IJSE_SE_EEES6_PlJS6_EEE10hipError_tPvRmT3_T4_T5_T6_T7_T9_mT8_P12ihipStream_tbDpT10_ENKUlT_T0_E_clISt17integral_constantIbLb1EES1A_IbLb0EEEEDaS16_S17_EUlS16_E_NS1_11comp_targetILNS1_3genE4ELNS1_11target_archE910ELNS1_3gpuE8ELNS1_3repE0EEENS1_30default_config_static_selectorELNS0_4arch9wavefront6targetE0EEEvT1_.uses_vcc, 0
	.set _ZN7rocprim17ROCPRIM_400000_NS6detail17trampoline_kernelINS0_14default_configENS1_25partition_config_selectorILNS1_17partition_subalgoE5EiNS0_10empty_typeEbEEZZNS1_14partition_implILS5_5ELb0ES3_mN6thrust23THRUST_200600_302600_NS17counting_iteratorIiNSA_11use_defaultESC_SC_EEPS6_NSA_18transform_iteratorINSA_8identityIiEENSA_6detail15normal_iteratorINSA_10device_ptrIiEEEESC_SC_EENS0_5tupleIJSM_S6_EEENSO_IJSE_SE_EEES6_PlJS6_EEE10hipError_tPvRmT3_T4_T5_T6_T7_T9_mT8_P12ihipStream_tbDpT10_ENKUlT_T0_E_clISt17integral_constantIbLb1EES1A_IbLb0EEEEDaS16_S17_EUlS16_E_NS1_11comp_targetILNS1_3genE4ELNS1_11target_archE910ELNS1_3gpuE8ELNS1_3repE0EEENS1_30default_config_static_selectorELNS0_4arch9wavefront6targetE0EEEvT1_.uses_flat_scratch, 0
	.set _ZN7rocprim17ROCPRIM_400000_NS6detail17trampoline_kernelINS0_14default_configENS1_25partition_config_selectorILNS1_17partition_subalgoE5EiNS0_10empty_typeEbEEZZNS1_14partition_implILS5_5ELb0ES3_mN6thrust23THRUST_200600_302600_NS17counting_iteratorIiNSA_11use_defaultESC_SC_EEPS6_NSA_18transform_iteratorINSA_8identityIiEENSA_6detail15normal_iteratorINSA_10device_ptrIiEEEESC_SC_EENS0_5tupleIJSM_S6_EEENSO_IJSE_SE_EEES6_PlJS6_EEE10hipError_tPvRmT3_T4_T5_T6_T7_T9_mT8_P12ihipStream_tbDpT10_ENKUlT_T0_E_clISt17integral_constantIbLb1EES1A_IbLb0EEEEDaS16_S17_EUlS16_E_NS1_11comp_targetILNS1_3genE4ELNS1_11target_archE910ELNS1_3gpuE8ELNS1_3repE0EEENS1_30default_config_static_selectorELNS0_4arch9wavefront6targetE0EEEvT1_.has_dyn_sized_stack, 0
	.set _ZN7rocprim17ROCPRIM_400000_NS6detail17trampoline_kernelINS0_14default_configENS1_25partition_config_selectorILNS1_17partition_subalgoE5EiNS0_10empty_typeEbEEZZNS1_14partition_implILS5_5ELb0ES3_mN6thrust23THRUST_200600_302600_NS17counting_iteratorIiNSA_11use_defaultESC_SC_EEPS6_NSA_18transform_iteratorINSA_8identityIiEENSA_6detail15normal_iteratorINSA_10device_ptrIiEEEESC_SC_EENS0_5tupleIJSM_S6_EEENSO_IJSE_SE_EEES6_PlJS6_EEE10hipError_tPvRmT3_T4_T5_T6_T7_T9_mT8_P12ihipStream_tbDpT10_ENKUlT_T0_E_clISt17integral_constantIbLb1EES1A_IbLb0EEEEDaS16_S17_EUlS16_E_NS1_11comp_targetILNS1_3genE4ELNS1_11target_archE910ELNS1_3gpuE8ELNS1_3repE0EEENS1_30default_config_static_selectorELNS0_4arch9wavefront6targetE0EEEvT1_.has_recursion, 0
	.set _ZN7rocprim17ROCPRIM_400000_NS6detail17trampoline_kernelINS0_14default_configENS1_25partition_config_selectorILNS1_17partition_subalgoE5EiNS0_10empty_typeEbEEZZNS1_14partition_implILS5_5ELb0ES3_mN6thrust23THRUST_200600_302600_NS17counting_iteratorIiNSA_11use_defaultESC_SC_EEPS6_NSA_18transform_iteratorINSA_8identityIiEENSA_6detail15normal_iteratorINSA_10device_ptrIiEEEESC_SC_EENS0_5tupleIJSM_S6_EEENSO_IJSE_SE_EEES6_PlJS6_EEE10hipError_tPvRmT3_T4_T5_T6_T7_T9_mT8_P12ihipStream_tbDpT10_ENKUlT_T0_E_clISt17integral_constantIbLb1EES1A_IbLb0EEEEDaS16_S17_EUlS16_E_NS1_11comp_targetILNS1_3genE4ELNS1_11target_archE910ELNS1_3gpuE8ELNS1_3repE0EEENS1_30default_config_static_selectorELNS0_4arch9wavefront6targetE0EEEvT1_.has_indirect_call, 0
	.section	.AMDGPU.csdata,"",@progbits
; Kernel info:
; codeLenInByte = 0
; TotalNumSgprs: 0
; NumVgprs: 0
; ScratchSize: 0
; MemoryBound: 0
; FloatMode: 240
; IeeeMode: 1
; LDSByteSize: 0 bytes/workgroup (compile time only)
; SGPRBlocks: 0
; VGPRBlocks: 0
; NumSGPRsForWavesPerEU: 1
; NumVGPRsForWavesPerEU: 1
; Occupancy: 16
; WaveLimiterHint : 0
; COMPUTE_PGM_RSRC2:SCRATCH_EN: 0
; COMPUTE_PGM_RSRC2:USER_SGPR: 2
; COMPUTE_PGM_RSRC2:TRAP_HANDLER: 0
; COMPUTE_PGM_RSRC2:TGID_X_EN: 1
; COMPUTE_PGM_RSRC2:TGID_Y_EN: 0
; COMPUTE_PGM_RSRC2:TGID_Z_EN: 0
; COMPUTE_PGM_RSRC2:TIDIG_COMP_CNT: 0
	.section	.text._ZN7rocprim17ROCPRIM_400000_NS6detail17trampoline_kernelINS0_14default_configENS1_25partition_config_selectorILNS1_17partition_subalgoE5EiNS0_10empty_typeEbEEZZNS1_14partition_implILS5_5ELb0ES3_mN6thrust23THRUST_200600_302600_NS17counting_iteratorIiNSA_11use_defaultESC_SC_EEPS6_NSA_18transform_iteratorINSA_8identityIiEENSA_6detail15normal_iteratorINSA_10device_ptrIiEEEESC_SC_EENS0_5tupleIJSM_S6_EEENSO_IJSE_SE_EEES6_PlJS6_EEE10hipError_tPvRmT3_T4_T5_T6_T7_T9_mT8_P12ihipStream_tbDpT10_ENKUlT_T0_E_clISt17integral_constantIbLb1EES1A_IbLb0EEEEDaS16_S17_EUlS16_E_NS1_11comp_targetILNS1_3genE3ELNS1_11target_archE908ELNS1_3gpuE7ELNS1_3repE0EEENS1_30default_config_static_selectorELNS0_4arch9wavefront6targetE0EEEvT1_,"axG",@progbits,_ZN7rocprim17ROCPRIM_400000_NS6detail17trampoline_kernelINS0_14default_configENS1_25partition_config_selectorILNS1_17partition_subalgoE5EiNS0_10empty_typeEbEEZZNS1_14partition_implILS5_5ELb0ES3_mN6thrust23THRUST_200600_302600_NS17counting_iteratorIiNSA_11use_defaultESC_SC_EEPS6_NSA_18transform_iteratorINSA_8identityIiEENSA_6detail15normal_iteratorINSA_10device_ptrIiEEEESC_SC_EENS0_5tupleIJSM_S6_EEENSO_IJSE_SE_EEES6_PlJS6_EEE10hipError_tPvRmT3_T4_T5_T6_T7_T9_mT8_P12ihipStream_tbDpT10_ENKUlT_T0_E_clISt17integral_constantIbLb1EES1A_IbLb0EEEEDaS16_S17_EUlS16_E_NS1_11comp_targetILNS1_3genE3ELNS1_11target_archE908ELNS1_3gpuE7ELNS1_3repE0EEENS1_30default_config_static_selectorELNS0_4arch9wavefront6targetE0EEEvT1_,comdat
	.protected	_ZN7rocprim17ROCPRIM_400000_NS6detail17trampoline_kernelINS0_14default_configENS1_25partition_config_selectorILNS1_17partition_subalgoE5EiNS0_10empty_typeEbEEZZNS1_14partition_implILS5_5ELb0ES3_mN6thrust23THRUST_200600_302600_NS17counting_iteratorIiNSA_11use_defaultESC_SC_EEPS6_NSA_18transform_iteratorINSA_8identityIiEENSA_6detail15normal_iteratorINSA_10device_ptrIiEEEESC_SC_EENS0_5tupleIJSM_S6_EEENSO_IJSE_SE_EEES6_PlJS6_EEE10hipError_tPvRmT3_T4_T5_T6_T7_T9_mT8_P12ihipStream_tbDpT10_ENKUlT_T0_E_clISt17integral_constantIbLb1EES1A_IbLb0EEEEDaS16_S17_EUlS16_E_NS1_11comp_targetILNS1_3genE3ELNS1_11target_archE908ELNS1_3gpuE7ELNS1_3repE0EEENS1_30default_config_static_selectorELNS0_4arch9wavefront6targetE0EEEvT1_ ; -- Begin function _ZN7rocprim17ROCPRIM_400000_NS6detail17trampoline_kernelINS0_14default_configENS1_25partition_config_selectorILNS1_17partition_subalgoE5EiNS0_10empty_typeEbEEZZNS1_14partition_implILS5_5ELb0ES3_mN6thrust23THRUST_200600_302600_NS17counting_iteratorIiNSA_11use_defaultESC_SC_EEPS6_NSA_18transform_iteratorINSA_8identityIiEENSA_6detail15normal_iteratorINSA_10device_ptrIiEEEESC_SC_EENS0_5tupleIJSM_S6_EEENSO_IJSE_SE_EEES6_PlJS6_EEE10hipError_tPvRmT3_T4_T5_T6_T7_T9_mT8_P12ihipStream_tbDpT10_ENKUlT_T0_E_clISt17integral_constantIbLb1EES1A_IbLb0EEEEDaS16_S17_EUlS16_E_NS1_11comp_targetILNS1_3genE3ELNS1_11target_archE908ELNS1_3gpuE7ELNS1_3repE0EEENS1_30default_config_static_selectorELNS0_4arch9wavefront6targetE0EEEvT1_
	.globl	_ZN7rocprim17ROCPRIM_400000_NS6detail17trampoline_kernelINS0_14default_configENS1_25partition_config_selectorILNS1_17partition_subalgoE5EiNS0_10empty_typeEbEEZZNS1_14partition_implILS5_5ELb0ES3_mN6thrust23THRUST_200600_302600_NS17counting_iteratorIiNSA_11use_defaultESC_SC_EEPS6_NSA_18transform_iteratorINSA_8identityIiEENSA_6detail15normal_iteratorINSA_10device_ptrIiEEEESC_SC_EENS0_5tupleIJSM_S6_EEENSO_IJSE_SE_EEES6_PlJS6_EEE10hipError_tPvRmT3_T4_T5_T6_T7_T9_mT8_P12ihipStream_tbDpT10_ENKUlT_T0_E_clISt17integral_constantIbLb1EES1A_IbLb0EEEEDaS16_S17_EUlS16_E_NS1_11comp_targetILNS1_3genE3ELNS1_11target_archE908ELNS1_3gpuE7ELNS1_3repE0EEENS1_30default_config_static_selectorELNS0_4arch9wavefront6targetE0EEEvT1_
	.p2align	8
	.type	_ZN7rocprim17ROCPRIM_400000_NS6detail17trampoline_kernelINS0_14default_configENS1_25partition_config_selectorILNS1_17partition_subalgoE5EiNS0_10empty_typeEbEEZZNS1_14partition_implILS5_5ELb0ES3_mN6thrust23THRUST_200600_302600_NS17counting_iteratorIiNSA_11use_defaultESC_SC_EEPS6_NSA_18transform_iteratorINSA_8identityIiEENSA_6detail15normal_iteratorINSA_10device_ptrIiEEEESC_SC_EENS0_5tupleIJSM_S6_EEENSO_IJSE_SE_EEES6_PlJS6_EEE10hipError_tPvRmT3_T4_T5_T6_T7_T9_mT8_P12ihipStream_tbDpT10_ENKUlT_T0_E_clISt17integral_constantIbLb1EES1A_IbLb0EEEEDaS16_S17_EUlS16_E_NS1_11comp_targetILNS1_3genE3ELNS1_11target_archE908ELNS1_3gpuE7ELNS1_3repE0EEENS1_30default_config_static_selectorELNS0_4arch9wavefront6targetE0EEEvT1_,@function
_ZN7rocprim17ROCPRIM_400000_NS6detail17trampoline_kernelINS0_14default_configENS1_25partition_config_selectorILNS1_17partition_subalgoE5EiNS0_10empty_typeEbEEZZNS1_14partition_implILS5_5ELb0ES3_mN6thrust23THRUST_200600_302600_NS17counting_iteratorIiNSA_11use_defaultESC_SC_EEPS6_NSA_18transform_iteratorINSA_8identityIiEENSA_6detail15normal_iteratorINSA_10device_ptrIiEEEESC_SC_EENS0_5tupleIJSM_S6_EEENSO_IJSE_SE_EEES6_PlJS6_EEE10hipError_tPvRmT3_T4_T5_T6_T7_T9_mT8_P12ihipStream_tbDpT10_ENKUlT_T0_E_clISt17integral_constantIbLb1EES1A_IbLb0EEEEDaS16_S17_EUlS16_E_NS1_11comp_targetILNS1_3genE3ELNS1_11target_archE908ELNS1_3gpuE7ELNS1_3repE0EEENS1_30default_config_static_selectorELNS0_4arch9wavefront6targetE0EEEvT1_: ; @_ZN7rocprim17ROCPRIM_400000_NS6detail17trampoline_kernelINS0_14default_configENS1_25partition_config_selectorILNS1_17partition_subalgoE5EiNS0_10empty_typeEbEEZZNS1_14partition_implILS5_5ELb0ES3_mN6thrust23THRUST_200600_302600_NS17counting_iteratorIiNSA_11use_defaultESC_SC_EEPS6_NSA_18transform_iteratorINSA_8identityIiEENSA_6detail15normal_iteratorINSA_10device_ptrIiEEEESC_SC_EENS0_5tupleIJSM_S6_EEENSO_IJSE_SE_EEES6_PlJS6_EEE10hipError_tPvRmT3_T4_T5_T6_T7_T9_mT8_P12ihipStream_tbDpT10_ENKUlT_T0_E_clISt17integral_constantIbLb1EES1A_IbLb0EEEEDaS16_S17_EUlS16_E_NS1_11comp_targetILNS1_3genE3ELNS1_11target_archE908ELNS1_3gpuE7ELNS1_3repE0EEENS1_30default_config_static_selectorELNS0_4arch9wavefront6targetE0EEEvT1_
; %bb.0:
	.section	.rodata,"a",@progbits
	.p2align	6, 0x0
	.amdhsa_kernel _ZN7rocprim17ROCPRIM_400000_NS6detail17trampoline_kernelINS0_14default_configENS1_25partition_config_selectorILNS1_17partition_subalgoE5EiNS0_10empty_typeEbEEZZNS1_14partition_implILS5_5ELb0ES3_mN6thrust23THRUST_200600_302600_NS17counting_iteratorIiNSA_11use_defaultESC_SC_EEPS6_NSA_18transform_iteratorINSA_8identityIiEENSA_6detail15normal_iteratorINSA_10device_ptrIiEEEESC_SC_EENS0_5tupleIJSM_S6_EEENSO_IJSE_SE_EEES6_PlJS6_EEE10hipError_tPvRmT3_T4_T5_T6_T7_T9_mT8_P12ihipStream_tbDpT10_ENKUlT_T0_E_clISt17integral_constantIbLb1EES1A_IbLb0EEEEDaS16_S17_EUlS16_E_NS1_11comp_targetILNS1_3genE3ELNS1_11target_archE908ELNS1_3gpuE7ELNS1_3repE0EEENS1_30default_config_static_selectorELNS0_4arch9wavefront6targetE0EEEvT1_
		.amdhsa_group_segment_fixed_size 0
		.amdhsa_private_segment_fixed_size 0
		.amdhsa_kernarg_size 120
		.amdhsa_user_sgpr_count 2
		.amdhsa_user_sgpr_dispatch_ptr 0
		.amdhsa_user_sgpr_queue_ptr 0
		.amdhsa_user_sgpr_kernarg_segment_ptr 1
		.amdhsa_user_sgpr_dispatch_id 0
		.amdhsa_user_sgpr_private_segment_size 0
		.amdhsa_wavefront_size32 1
		.amdhsa_uses_dynamic_stack 0
		.amdhsa_enable_private_segment 0
		.amdhsa_system_sgpr_workgroup_id_x 1
		.amdhsa_system_sgpr_workgroup_id_y 0
		.amdhsa_system_sgpr_workgroup_id_z 0
		.amdhsa_system_sgpr_workgroup_info 0
		.amdhsa_system_vgpr_workitem_id 0
		.amdhsa_next_free_vgpr 1
		.amdhsa_next_free_sgpr 1
		.amdhsa_reserve_vcc 0
		.amdhsa_float_round_mode_32 0
		.amdhsa_float_round_mode_16_64 0
		.amdhsa_float_denorm_mode_32 3
		.amdhsa_float_denorm_mode_16_64 3
		.amdhsa_fp16_overflow 0
		.amdhsa_workgroup_processor_mode 1
		.amdhsa_memory_ordered 1
		.amdhsa_forward_progress 1
		.amdhsa_inst_pref_size 0
		.amdhsa_round_robin_scheduling 0
		.amdhsa_exception_fp_ieee_invalid_op 0
		.amdhsa_exception_fp_denorm_src 0
		.amdhsa_exception_fp_ieee_div_zero 0
		.amdhsa_exception_fp_ieee_overflow 0
		.amdhsa_exception_fp_ieee_underflow 0
		.amdhsa_exception_fp_ieee_inexact 0
		.amdhsa_exception_int_div_zero 0
	.end_amdhsa_kernel
	.section	.text._ZN7rocprim17ROCPRIM_400000_NS6detail17trampoline_kernelINS0_14default_configENS1_25partition_config_selectorILNS1_17partition_subalgoE5EiNS0_10empty_typeEbEEZZNS1_14partition_implILS5_5ELb0ES3_mN6thrust23THRUST_200600_302600_NS17counting_iteratorIiNSA_11use_defaultESC_SC_EEPS6_NSA_18transform_iteratorINSA_8identityIiEENSA_6detail15normal_iteratorINSA_10device_ptrIiEEEESC_SC_EENS0_5tupleIJSM_S6_EEENSO_IJSE_SE_EEES6_PlJS6_EEE10hipError_tPvRmT3_T4_T5_T6_T7_T9_mT8_P12ihipStream_tbDpT10_ENKUlT_T0_E_clISt17integral_constantIbLb1EES1A_IbLb0EEEEDaS16_S17_EUlS16_E_NS1_11comp_targetILNS1_3genE3ELNS1_11target_archE908ELNS1_3gpuE7ELNS1_3repE0EEENS1_30default_config_static_selectorELNS0_4arch9wavefront6targetE0EEEvT1_,"axG",@progbits,_ZN7rocprim17ROCPRIM_400000_NS6detail17trampoline_kernelINS0_14default_configENS1_25partition_config_selectorILNS1_17partition_subalgoE5EiNS0_10empty_typeEbEEZZNS1_14partition_implILS5_5ELb0ES3_mN6thrust23THRUST_200600_302600_NS17counting_iteratorIiNSA_11use_defaultESC_SC_EEPS6_NSA_18transform_iteratorINSA_8identityIiEENSA_6detail15normal_iteratorINSA_10device_ptrIiEEEESC_SC_EENS0_5tupleIJSM_S6_EEENSO_IJSE_SE_EEES6_PlJS6_EEE10hipError_tPvRmT3_T4_T5_T6_T7_T9_mT8_P12ihipStream_tbDpT10_ENKUlT_T0_E_clISt17integral_constantIbLb1EES1A_IbLb0EEEEDaS16_S17_EUlS16_E_NS1_11comp_targetILNS1_3genE3ELNS1_11target_archE908ELNS1_3gpuE7ELNS1_3repE0EEENS1_30default_config_static_selectorELNS0_4arch9wavefront6targetE0EEEvT1_,comdat
.Lfunc_end31:
	.size	_ZN7rocprim17ROCPRIM_400000_NS6detail17trampoline_kernelINS0_14default_configENS1_25partition_config_selectorILNS1_17partition_subalgoE5EiNS0_10empty_typeEbEEZZNS1_14partition_implILS5_5ELb0ES3_mN6thrust23THRUST_200600_302600_NS17counting_iteratorIiNSA_11use_defaultESC_SC_EEPS6_NSA_18transform_iteratorINSA_8identityIiEENSA_6detail15normal_iteratorINSA_10device_ptrIiEEEESC_SC_EENS0_5tupleIJSM_S6_EEENSO_IJSE_SE_EEES6_PlJS6_EEE10hipError_tPvRmT3_T4_T5_T6_T7_T9_mT8_P12ihipStream_tbDpT10_ENKUlT_T0_E_clISt17integral_constantIbLb1EES1A_IbLb0EEEEDaS16_S17_EUlS16_E_NS1_11comp_targetILNS1_3genE3ELNS1_11target_archE908ELNS1_3gpuE7ELNS1_3repE0EEENS1_30default_config_static_selectorELNS0_4arch9wavefront6targetE0EEEvT1_, .Lfunc_end31-_ZN7rocprim17ROCPRIM_400000_NS6detail17trampoline_kernelINS0_14default_configENS1_25partition_config_selectorILNS1_17partition_subalgoE5EiNS0_10empty_typeEbEEZZNS1_14partition_implILS5_5ELb0ES3_mN6thrust23THRUST_200600_302600_NS17counting_iteratorIiNSA_11use_defaultESC_SC_EEPS6_NSA_18transform_iteratorINSA_8identityIiEENSA_6detail15normal_iteratorINSA_10device_ptrIiEEEESC_SC_EENS0_5tupleIJSM_S6_EEENSO_IJSE_SE_EEES6_PlJS6_EEE10hipError_tPvRmT3_T4_T5_T6_T7_T9_mT8_P12ihipStream_tbDpT10_ENKUlT_T0_E_clISt17integral_constantIbLb1EES1A_IbLb0EEEEDaS16_S17_EUlS16_E_NS1_11comp_targetILNS1_3genE3ELNS1_11target_archE908ELNS1_3gpuE7ELNS1_3repE0EEENS1_30default_config_static_selectorELNS0_4arch9wavefront6targetE0EEEvT1_
                                        ; -- End function
	.set _ZN7rocprim17ROCPRIM_400000_NS6detail17trampoline_kernelINS0_14default_configENS1_25partition_config_selectorILNS1_17partition_subalgoE5EiNS0_10empty_typeEbEEZZNS1_14partition_implILS5_5ELb0ES3_mN6thrust23THRUST_200600_302600_NS17counting_iteratorIiNSA_11use_defaultESC_SC_EEPS6_NSA_18transform_iteratorINSA_8identityIiEENSA_6detail15normal_iteratorINSA_10device_ptrIiEEEESC_SC_EENS0_5tupleIJSM_S6_EEENSO_IJSE_SE_EEES6_PlJS6_EEE10hipError_tPvRmT3_T4_T5_T6_T7_T9_mT8_P12ihipStream_tbDpT10_ENKUlT_T0_E_clISt17integral_constantIbLb1EES1A_IbLb0EEEEDaS16_S17_EUlS16_E_NS1_11comp_targetILNS1_3genE3ELNS1_11target_archE908ELNS1_3gpuE7ELNS1_3repE0EEENS1_30default_config_static_selectorELNS0_4arch9wavefront6targetE0EEEvT1_.num_vgpr, 0
	.set _ZN7rocprim17ROCPRIM_400000_NS6detail17trampoline_kernelINS0_14default_configENS1_25partition_config_selectorILNS1_17partition_subalgoE5EiNS0_10empty_typeEbEEZZNS1_14partition_implILS5_5ELb0ES3_mN6thrust23THRUST_200600_302600_NS17counting_iteratorIiNSA_11use_defaultESC_SC_EEPS6_NSA_18transform_iteratorINSA_8identityIiEENSA_6detail15normal_iteratorINSA_10device_ptrIiEEEESC_SC_EENS0_5tupleIJSM_S6_EEENSO_IJSE_SE_EEES6_PlJS6_EEE10hipError_tPvRmT3_T4_T5_T6_T7_T9_mT8_P12ihipStream_tbDpT10_ENKUlT_T0_E_clISt17integral_constantIbLb1EES1A_IbLb0EEEEDaS16_S17_EUlS16_E_NS1_11comp_targetILNS1_3genE3ELNS1_11target_archE908ELNS1_3gpuE7ELNS1_3repE0EEENS1_30default_config_static_selectorELNS0_4arch9wavefront6targetE0EEEvT1_.num_agpr, 0
	.set _ZN7rocprim17ROCPRIM_400000_NS6detail17trampoline_kernelINS0_14default_configENS1_25partition_config_selectorILNS1_17partition_subalgoE5EiNS0_10empty_typeEbEEZZNS1_14partition_implILS5_5ELb0ES3_mN6thrust23THRUST_200600_302600_NS17counting_iteratorIiNSA_11use_defaultESC_SC_EEPS6_NSA_18transform_iteratorINSA_8identityIiEENSA_6detail15normal_iteratorINSA_10device_ptrIiEEEESC_SC_EENS0_5tupleIJSM_S6_EEENSO_IJSE_SE_EEES6_PlJS6_EEE10hipError_tPvRmT3_T4_T5_T6_T7_T9_mT8_P12ihipStream_tbDpT10_ENKUlT_T0_E_clISt17integral_constantIbLb1EES1A_IbLb0EEEEDaS16_S17_EUlS16_E_NS1_11comp_targetILNS1_3genE3ELNS1_11target_archE908ELNS1_3gpuE7ELNS1_3repE0EEENS1_30default_config_static_selectorELNS0_4arch9wavefront6targetE0EEEvT1_.numbered_sgpr, 0
	.set _ZN7rocprim17ROCPRIM_400000_NS6detail17trampoline_kernelINS0_14default_configENS1_25partition_config_selectorILNS1_17partition_subalgoE5EiNS0_10empty_typeEbEEZZNS1_14partition_implILS5_5ELb0ES3_mN6thrust23THRUST_200600_302600_NS17counting_iteratorIiNSA_11use_defaultESC_SC_EEPS6_NSA_18transform_iteratorINSA_8identityIiEENSA_6detail15normal_iteratorINSA_10device_ptrIiEEEESC_SC_EENS0_5tupleIJSM_S6_EEENSO_IJSE_SE_EEES6_PlJS6_EEE10hipError_tPvRmT3_T4_T5_T6_T7_T9_mT8_P12ihipStream_tbDpT10_ENKUlT_T0_E_clISt17integral_constantIbLb1EES1A_IbLb0EEEEDaS16_S17_EUlS16_E_NS1_11comp_targetILNS1_3genE3ELNS1_11target_archE908ELNS1_3gpuE7ELNS1_3repE0EEENS1_30default_config_static_selectorELNS0_4arch9wavefront6targetE0EEEvT1_.num_named_barrier, 0
	.set _ZN7rocprim17ROCPRIM_400000_NS6detail17trampoline_kernelINS0_14default_configENS1_25partition_config_selectorILNS1_17partition_subalgoE5EiNS0_10empty_typeEbEEZZNS1_14partition_implILS5_5ELb0ES3_mN6thrust23THRUST_200600_302600_NS17counting_iteratorIiNSA_11use_defaultESC_SC_EEPS6_NSA_18transform_iteratorINSA_8identityIiEENSA_6detail15normal_iteratorINSA_10device_ptrIiEEEESC_SC_EENS0_5tupleIJSM_S6_EEENSO_IJSE_SE_EEES6_PlJS6_EEE10hipError_tPvRmT3_T4_T5_T6_T7_T9_mT8_P12ihipStream_tbDpT10_ENKUlT_T0_E_clISt17integral_constantIbLb1EES1A_IbLb0EEEEDaS16_S17_EUlS16_E_NS1_11comp_targetILNS1_3genE3ELNS1_11target_archE908ELNS1_3gpuE7ELNS1_3repE0EEENS1_30default_config_static_selectorELNS0_4arch9wavefront6targetE0EEEvT1_.private_seg_size, 0
	.set _ZN7rocprim17ROCPRIM_400000_NS6detail17trampoline_kernelINS0_14default_configENS1_25partition_config_selectorILNS1_17partition_subalgoE5EiNS0_10empty_typeEbEEZZNS1_14partition_implILS5_5ELb0ES3_mN6thrust23THRUST_200600_302600_NS17counting_iteratorIiNSA_11use_defaultESC_SC_EEPS6_NSA_18transform_iteratorINSA_8identityIiEENSA_6detail15normal_iteratorINSA_10device_ptrIiEEEESC_SC_EENS0_5tupleIJSM_S6_EEENSO_IJSE_SE_EEES6_PlJS6_EEE10hipError_tPvRmT3_T4_T5_T6_T7_T9_mT8_P12ihipStream_tbDpT10_ENKUlT_T0_E_clISt17integral_constantIbLb1EES1A_IbLb0EEEEDaS16_S17_EUlS16_E_NS1_11comp_targetILNS1_3genE3ELNS1_11target_archE908ELNS1_3gpuE7ELNS1_3repE0EEENS1_30default_config_static_selectorELNS0_4arch9wavefront6targetE0EEEvT1_.uses_vcc, 0
	.set _ZN7rocprim17ROCPRIM_400000_NS6detail17trampoline_kernelINS0_14default_configENS1_25partition_config_selectorILNS1_17partition_subalgoE5EiNS0_10empty_typeEbEEZZNS1_14partition_implILS5_5ELb0ES3_mN6thrust23THRUST_200600_302600_NS17counting_iteratorIiNSA_11use_defaultESC_SC_EEPS6_NSA_18transform_iteratorINSA_8identityIiEENSA_6detail15normal_iteratorINSA_10device_ptrIiEEEESC_SC_EENS0_5tupleIJSM_S6_EEENSO_IJSE_SE_EEES6_PlJS6_EEE10hipError_tPvRmT3_T4_T5_T6_T7_T9_mT8_P12ihipStream_tbDpT10_ENKUlT_T0_E_clISt17integral_constantIbLb1EES1A_IbLb0EEEEDaS16_S17_EUlS16_E_NS1_11comp_targetILNS1_3genE3ELNS1_11target_archE908ELNS1_3gpuE7ELNS1_3repE0EEENS1_30default_config_static_selectorELNS0_4arch9wavefront6targetE0EEEvT1_.uses_flat_scratch, 0
	.set _ZN7rocprim17ROCPRIM_400000_NS6detail17trampoline_kernelINS0_14default_configENS1_25partition_config_selectorILNS1_17partition_subalgoE5EiNS0_10empty_typeEbEEZZNS1_14partition_implILS5_5ELb0ES3_mN6thrust23THRUST_200600_302600_NS17counting_iteratorIiNSA_11use_defaultESC_SC_EEPS6_NSA_18transform_iteratorINSA_8identityIiEENSA_6detail15normal_iteratorINSA_10device_ptrIiEEEESC_SC_EENS0_5tupleIJSM_S6_EEENSO_IJSE_SE_EEES6_PlJS6_EEE10hipError_tPvRmT3_T4_T5_T6_T7_T9_mT8_P12ihipStream_tbDpT10_ENKUlT_T0_E_clISt17integral_constantIbLb1EES1A_IbLb0EEEEDaS16_S17_EUlS16_E_NS1_11comp_targetILNS1_3genE3ELNS1_11target_archE908ELNS1_3gpuE7ELNS1_3repE0EEENS1_30default_config_static_selectorELNS0_4arch9wavefront6targetE0EEEvT1_.has_dyn_sized_stack, 0
	.set _ZN7rocprim17ROCPRIM_400000_NS6detail17trampoline_kernelINS0_14default_configENS1_25partition_config_selectorILNS1_17partition_subalgoE5EiNS0_10empty_typeEbEEZZNS1_14partition_implILS5_5ELb0ES3_mN6thrust23THRUST_200600_302600_NS17counting_iteratorIiNSA_11use_defaultESC_SC_EEPS6_NSA_18transform_iteratorINSA_8identityIiEENSA_6detail15normal_iteratorINSA_10device_ptrIiEEEESC_SC_EENS0_5tupleIJSM_S6_EEENSO_IJSE_SE_EEES6_PlJS6_EEE10hipError_tPvRmT3_T4_T5_T6_T7_T9_mT8_P12ihipStream_tbDpT10_ENKUlT_T0_E_clISt17integral_constantIbLb1EES1A_IbLb0EEEEDaS16_S17_EUlS16_E_NS1_11comp_targetILNS1_3genE3ELNS1_11target_archE908ELNS1_3gpuE7ELNS1_3repE0EEENS1_30default_config_static_selectorELNS0_4arch9wavefront6targetE0EEEvT1_.has_recursion, 0
	.set _ZN7rocprim17ROCPRIM_400000_NS6detail17trampoline_kernelINS0_14default_configENS1_25partition_config_selectorILNS1_17partition_subalgoE5EiNS0_10empty_typeEbEEZZNS1_14partition_implILS5_5ELb0ES3_mN6thrust23THRUST_200600_302600_NS17counting_iteratorIiNSA_11use_defaultESC_SC_EEPS6_NSA_18transform_iteratorINSA_8identityIiEENSA_6detail15normal_iteratorINSA_10device_ptrIiEEEESC_SC_EENS0_5tupleIJSM_S6_EEENSO_IJSE_SE_EEES6_PlJS6_EEE10hipError_tPvRmT3_T4_T5_T6_T7_T9_mT8_P12ihipStream_tbDpT10_ENKUlT_T0_E_clISt17integral_constantIbLb1EES1A_IbLb0EEEEDaS16_S17_EUlS16_E_NS1_11comp_targetILNS1_3genE3ELNS1_11target_archE908ELNS1_3gpuE7ELNS1_3repE0EEENS1_30default_config_static_selectorELNS0_4arch9wavefront6targetE0EEEvT1_.has_indirect_call, 0
	.section	.AMDGPU.csdata,"",@progbits
; Kernel info:
; codeLenInByte = 0
; TotalNumSgprs: 0
; NumVgprs: 0
; ScratchSize: 0
; MemoryBound: 0
; FloatMode: 240
; IeeeMode: 1
; LDSByteSize: 0 bytes/workgroup (compile time only)
; SGPRBlocks: 0
; VGPRBlocks: 0
; NumSGPRsForWavesPerEU: 1
; NumVGPRsForWavesPerEU: 1
; Occupancy: 16
; WaveLimiterHint : 0
; COMPUTE_PGM_RSRC2:SCRATCH_EN: 0
; COMPUTE_PGM_RSRC2:USER_SGPR: 2
; COMPUTE_PGM_RSRC2:TRAP_HANDLER: 0
; COMPUTE_PGM_RSRC2:TGID_X_EN: 1
; COMPUTE_PGM_RSRC2:TGID_Y_EN: 0
; COMPUTE_PGM_RSRC2:TGID_Z_EN: 0
; COMPUTE_PGM_RSRC2:TIDIG_COMP_CNT: 0
	.section	.text._ZN7rocprim17ROCPRIM_400000_NS6detail17trampoline_kernelINS0_14default_configENS1_25partition_config_selectorILNS1_17partition_subalgoE5EiNS0_10empty_typeEbEEZZNS1_14partition_implILS5_5ELb0ES3_mN6thrust23THRUST_200600_302600_NS17counting_iteratorIiNSA_11use_defaultESC_SC_EEPS6_NSA_18transform_iteratorINSA_8identityIiEENSA_6detail15normal_iteratorINSA_10device_ptrIiEEEESC_SC_EENS0_5tupleIJSM_S6_EEENSO_IJSE_SE_EEES6_PlJS6_EEE10hipError_tPvRmT3_T4_T5_T6_T7_T9_mT8_P12ihipStream_tbDpT10_ENKUlT_T0_E_clISt17integral_constantIbLb1EES1A_IbLb0EEEEDaS16_S17_EUlS16_E_NS1_11comp_targetILNS1_3genE2ELNS1_11target_archE906ELNS1_3gpuE6ELNS1_3repE0EEENS1_30default_config_static_selectorELNS0_4arch9wavefront6targetE0EEEvT1_,"axG",@progbits,_ZN7rocprim17ROCPRIM_400000_NS6detail17trampoline_kernelINS0_14default_configENS1_25partition_config_selectorILNS1_17partition_subalgoE5EiNS0_10empty_typeEbEEZZNS1_14partition_implILS5_5ELb0ES3_mN6thrust23THRUST_200600_302600_NS17counting_iteratorIiNSA_11use_defaultESC_SC_EEPS6_NSA_18transform_iteratorINSA_8identityIiEENSA_6detail15normal_iteratorINSA_10device_ptrIiEEEESC_SC_EENS0_5tupleIJSM_S6_EEENSO_IJSE_SE_EEES6_PlJS6_EEE10hipError_tPvRmT3_T4_T5_T6_T7_T9_mT8_P12ihipStream_tbDpT10_ENKUlT_T0_E_clISt17integral_constantIbLb1EES1A_IbLb0EEEEDaS16_S17_EUlS16_E_NS1_11comp_targetILNS1_3genE2ELNS1_11target_archE906ELNS1_3gpuE6ELNS1_3repE0EEENS1_30default_config_static_selectorELNS0_4arch9wavefront6targetE0EEEvT1_,comdat
	.protected	_ZN7rocprim17ROCPRIM_400000_NS6detail17trampoline_kernelINS0_14default_configENS1_25partition_config_selectorILNS1_17partition_subalgoE5EiNS0_10empty_typeEbEEZZNS1_14partition_implILS5_5ELb0ES3_mN6thrust23THRUST_200600_302600_NS17counting_iteratorIiNSA_11use_defaultESC_SC_EEPS6_NSA_18transform_iteratorINSA_8identityIiEENSA_6detail15normal_iteratorINSA_10device_ptrIiEEEESC_SC_EENS0_5tupleIJSM_S6_EEENSO_IJSE_SE_EEES6_PlJS6_EEE10hipError_tPvRmT3_T4_T5_T6_T7_T9_mT8_P12ihipStream_tbDpT10_ENKUlT_T0_E_clISt17integral_constantIbLb1EES1A_IbLb0EEEEDaS16_S17_EUlS16_E_NS1_11comp_targetILNS1_3genE2ELNS1_11target_archE906ELNS1_3gpuE6ELNS1_3repE0EEENS1_30default_config_static_selectorELNS0_4arch9wavefront6targetE0EEEvT1_ ; -- Begin function _ZN7rocprim17ROCPRIM_400000_NS6detail17trampoline_kernelINS0_14default_configENS1_25partition_config_selectorILNS1_17partition_subalgoE5EiNS0_10empty_typeEbEEZZNS1_14partition_implILS5_5ELb0ES3_mN6thrust23THRUST_200600_302600_NS17counting_iteratorIiNSA_11use_defaultESC_SC_EEPS6_NSA_18transform_iteratorINSA_8identityIiEENSA_6detail15normal_iteratorINSA_10device_ptrIiEEEESC_SC_EENS0_5tupleIJSM_S6_EEENSO_IJSE_SE_EEES6_PlJS6_EEE10hipError_tPvRmT3_T4_T5_T6_T7_T9_mT8_P12ihipStream_tbDpT10_ENKUlT_T0_E_clISt17integral_constantIbLb1EES1A_IbLb0EEEEDaS16_S17_EUlS16_E_NS1_11comp_targetILNS1_3genE2ELNS1_11target_archE906ELNS1_3gpuE6ELNS1_3repE0EEENS1_30default_config_static_selectorELNS0_4arch9wavefront6targetE0EEEvT1_
	.globl	_ZN7rocprim17ROCPRIM_400000_NS6detail17trampoline_kernelINS0_14default_configENS1_25partition_config_selectorILNS1_17partition_subalgoE5EiNS0_10empty_typeEbEEZZNS1_14partition_implILS5_5ELb0ES3_mN6thrust23THRUST_200600_302600_NS17counting_iteratorIiNSA_11use_defaultESC_SC_EEPS6_NSA_18transform_iteratorINSA_8identityIiEENSA_6detail15normal_iteratorINSA_10device_ptrIiEEEESC_SC_EENS0_5tupleIJSM_S6_EEENSO_IJSE_SE_EEES6_PlJS6_EEE10hipError_tPvRmT3_T4_T5_T6_T7_T9_mT8_P12ihipStream_tbDpT10_ENKUlT_T0_E_clISt17integral_constantIbLb1EES1A_IbLb0EEEEDaS16_S17_EUlS16_E_NS1_11comp_targetILNS1_3genE2ELNS1_11target_archE906ELNS1_3gpuE6ELNS1_3repE0EEENS1_30default_config_static_selectorELNS0_4arch9wavefront6targetE0EEEvT1_
	.p2align	8
	.type	_ZN7rocprim17ROCPRIM_400000_NS6detail17trampoline_kernelINS0_14default_configENS1_25partition_config_selectorILNS1_17partition_subalgoE5EiNS0_10empty_typeEbEEZZNS1_14partition_implILS5_5ELb0ES3_mN6thrust23THRUST_200600_302600_NS17counting_iteratorIiNSA_11use_defaultESC_SC_EEPS6_NSA_18transform_iteratorINSA_8identityIiEENSA_6detail15normal_iteratorINSA_10device_ptrIiEEEESC_SC_EENS0_5tupleIJSM_S6_EEENSO_IJSE_SE_EEES6_PlJS6_EEE10hipError_tPvRmT3_T4_T5_T6_T7_T9_mT8_P12ihipStream_tbDpT10_ENKUlT_T0_E_clISt17integral_constantIbLb1EES1A_IbLb0EEEEDaS16_S17_EUlS16_E_NS1_11comp_targetILNS1_3genE2ELNS1_11target_archE906ELNS1_3gpuE6ELNS1_3repE0EEENS1_30default_config_static_selectorELNS0_4arch9wavefront6targetE0EEEvT1_,@function
_ZN7rocprim17ROCPRIM_400000_NS6detail17trampoline_kernelINS0_14default_configENS1_25partition_config_selectorILNS1_17partition_subalgoE5EiNS0_10empty_typeEbEEZZNS1_14partition_implILS5_5ELb0ES3_mN6thrust23THRUST_200600_302600_NS17counting_iteratorIiNSA_11use_defaultESC_SC_EEPS6_NSA_18transform_iteratorINSA_8identityIiEENSA_6detail15normal_iteratorINSA_10device_ptrIiEEEESC_SC_EENS0_5tupleIJSM_S6_EEENSO_IJSE_SE_EEES6_PlJS6_EEE10hipError_tPvRmT3_T4_T5_T6_T7_T9_mT8_P12ihipStream_tbDpT10_ENKUlT_T0_E_clISt17integral_constantIbLb1EES1A_IbLb0EEEEDaS16_S17_EUlS16_E_NS1_11comp_targetILNS1_3genE2ELNS1_11target_archE906ELNS1_3gpuE6ELNS1_3repE0EEENS1_30default_config_static_selectorELNS0_4arch9wavefront6targetE0EEEvT1_: ; @_ZN7rocprim17ROCPRIM_400000_NS6detail17trampoline_kernelINS0_14default_configENS1_25partition_config_selectorILNS1_17partition_subalgoE5EiNS0_10empty_typeEbEEZZNS1_14partition_implILS5_5ELb0ES3_mN6thrust23THRUST_200600_302600_NS17counting_iteratorIiNSA_11use_defaultESC_SC_EEPS6_NSA_18transform_iteratorINSA_8identityIiEENSA_6detail15normal_iteratorINSA_10device_ptrIiEEEESC_SC_EENS0_5tupleIJSM_S6_EEENSO_IJSE_SE_EEES6_PlJS6_EEE10hipError_tPvRmT3_T4_T5_T6_T7_T9_mT8_P12ihipStream_tbDpT10_ENKUlT_T0_E_clISt17integral_constantIbLb1EES1A_IbLb0EEEEDaS16_S17_EUlS16_E_NS1_11comp_targetILNS1_3genE2ELNS1_11target_archE906ELNS1_3gpuE6ELNS1_3repE0EEENS1_30default_config_static_selectorELNS0_4arch9wavefront6targetE0EEEvT1_
; %bb.0:
	.section	.rodata,"a",@progbits
	.p2align	6, 0x0
	.amdhsa_kernel _ZN7rocprim17ROCPRIM_400000_NS6detail17trampoline_kernelINS0_14default_configENS1_25partition_config_selectorILNS1_17partition_subalgoE5EiNS0_10empty_typeEbEEZZNS1_14partition_implILS5_5ELb0ES3_mN6thrust23THRUST_200600_302600_NS17counting_iteratorIiNSA_11use_defaultESC_SC_EEPS6_NSA_18transform_iteratorINSA_8identityIiEENSA_6detail15normal_iteratorINSA_10device_ptrIiEEEESC_SC_EENS0_5tupleIJSM_S6_EEENSO_IJSE_SE_EEES6_PlJS6_EEE10hipError_tPvRmT3_T4_T5_T6_T7_T9_mT8_P12ihipStream_tbDpT10_ENKUlT_T0_E_clISt17integral_constantIbLb1EES1A_IbLb0EEEEDaS16_S17_EUlS16_E_NS1_11comp_targetILNS1_3genE2ELNS1_11target_archE906ELNS1_3gpuE6ELNS1_3repE0EEENS1_30default_config_static_selectorELNS0_4arch9wavefront6targetE0EEEvT1_
		.amdhsa_group_segment_fixed_size 0
		.amdhsa_private_segment_fixed_size 0
		.amdhsa_kernarg_size 120
		.amdhsa_user_sgpr_count 2
		.amdhsa_user_sgpr_dispatch_ptr 0
		.amdhsa_user_sgpr_queue_ptr 0
		.amdhsa_user_sgpr_kernarg_segment_ptr 1
		.amdhsa_user_sgpr_dispatch_id 0
		.amdhsa_user_sgpr_private_segment_size 0
		.amdhsa_wavefront_size32 1
		.amdhsa_uses_dynamic_stack 0
		.amdhsa_enable_private_segment 0
		.amdhsa_system_sgpr_workgroup_id_x 1
		.amdhsa_system_sgpr_workgroup_id_y 0
		.amdhsa_system_sgpr_workgroup_id_z 0
		.amdhsa_system_sgpr_workgroup_info 0
		.amdhsa_system_vgpr_workitem_id 0
		.amdhsa_next_free_vgpr 1
		.amdhsa_next_free_sgpr 1
		.amdhsa_reserve_vcc 0
		.amdhsa_float_round_mode_32 0
		.amdhsa_float_round_mode_16_64 0
		.amdhsa_float_denorm_mode_32 3
		.amdhsa_float_denorm_mode_16_64 3
		.amdhsa_fp16_overflow 0
		.amdhsa_workgroup_processor_mode 1
		.amdhsa_memory_ordered 1
		.amdhsa_forward_progress 1
		.amdhsa_inst_pref_size 0
		.amdhsa_round_robin_scheduling 0
		.amdhsa_exception_fp_ieee_invalid_op 0
		.amdhsa_exception_fp_denorm_src 0
		.amdhsa_exception_fp_ieee_div_zero 0
		.amdhsa_exception_fp_ieee_overflow 0
		.amdhsa_exception_fp_ieee_underflow 0
		.amdhsa_exception_fp_ieee_inexact 0
		.amdhsa_exception_int_div_zero 0
	.end_amdhsa_kernel
	.section	.text._ZN7rocprim17ROCPRIM_400000_NS6detail17trampoline_kernelINS0_14default_configENS1_25partition_config_selectorILNS1_17partition_subalgoE5EiNS0_10empty_typeEbEEZZNS1_14partition_implILS5_5ELb0ES3_mN6thrust23THRUST_200600_302600_NS17counting_iteratorIiNSA_11use_defaultESC_SC_EEPS6_NSA_18transform_iteratorINSA_8identityIiEENSA_6detail15normal_iteratorINSA_10device_ptrIiEEEESC_SC_EENS0_5tupleIJSM_S6_EEENSO_IJSE_SE_EEES6_PlJS6_EEE10hipError_tPvRmT3_T4_T5_T6_T7_T9_mT8_P12ihipStream_tbDpT10_ENKUlT_T0_E_clISt17integral_constantIbLb1EES1A_IbLb0EEEEDaS16_S17_EUlS16_E_NS1_11comp_targetILNS1_3genE2ELNS1_11target_archE906ELNS1_3gpuE6ELNS1_3repE0EEENS1_30default_config_static_selectorELNS0_4arch9wavefront6targetE0EEEvT1_,"axG",@progbits,_ZN7rocprim17ROCPRIM_400000_NS6detail17trampoline_kernelINS0_14default_configENS1_25partition_config_selectorILNS1_17partition_subalgoE5EiNS0_10empty_typeEbEEZZNS1_14partition_implILS5_5ELb0ES3_mN6thrust23THRUST_200600_302600_NS17counting_iteratorIiNSA_11use_defaultESC_SC_EEPS6_NSA_18transform_iteratorINSA_8identityIiEENSA_6detail15normal_iteratorINSA_10device_ptrIiEEEESC_SC_EENS0_5tupleIJSM_S6_EEENSO_IJSE_SE_EEES6_PlJS6_EEE10hipError_tPvRmT3_T4_T5_T6_T7_T9_mT8_P12ihipStream_tbDpT10_ENKUlT_T0_E_clISt17integral_constantIbLb1EES1A_IbLb0EEEEDaS16_S17_EUlS16_E_NS1_11comp_targetILNS1_3genE2ELNS1_11target_archE906ELNS1_3gpuE6ELNS1_3repE0EEENS1_30default_config_static_selectorELNS0_4arch9wavefront6targetE0EEEvT1_,comdat
.Lfunc_end32:
	.size	_ZN7rocprim17ROCPRIM_400000_NS6detail17trampoline_kernelINS0_14default_configENS1_25partition_config_selectorILNS1_17partition_subalgoE5EiNS0_10empty_typeEbEEZZNS1_14partition_implILS5_5ELb0ES3_mN6thrust23THRUST_200600_302600_NS17counting_iteratorIiNSA_11use_defaultESC_SC_EEPS6_NSA_18transform_iteratorINSA_8identityIiEENSA_6detail15normal_iteratorINSA_10device_ptrIiEEEESC_SC_EENS0_5tupleIJSM_S6_EEENSO_IJSE_SE_EEES6_PlJS6_EEE10hipError_tPvRmT3_T4_T5_T6_T7_T9_mT8_P12ihipStream_tbDpT10_ENKUlT_T0_E_clISt17integral_constantIbLb1EES1A_IbLb0EEEEDaS16_S17_EUlS16_E_NS1_11comp_targetILNS1_3genE2ELNS1_11target_archE906ELNS1_3gpuE6ELNS1_3repE0EEENS1_30default_config_static_selectorELNS0_4arch9wavefront6targetE0EEEvT1_, .Lfunc_end32-_ZN7rocprim17ROCPRIM_400000_NS6detail17trampoline_kernelINS0_14default_configENS1_25partition_config_selectorILNS1_17partition_subalgoE5EiNS0_10empty_typeEbEEZZNS1_14partition_implILS5_5ELb0ES3_mN6thrust23THRUST_200600_302600_NS17counting_iteratorIiNSA_11use_defaultESC_SC_EEPS6_NSA_18transform_iteratorINSA_8identityIiEENSA_6detail15normal_iteratorINSA_10device_ptrIiEEEESC_SC_EENS0_5tupleIJSM_S6_EEENSO_IJSE_SE_EEES6_PlJS6_EEE10hipError_tPvRmT3_T4_T5_T6_T7_T9_mT8_P12ihipStream_tbDpT10_ENKUlT_T0_E_clISt17integral_constantIbLb1EES1A_IbLb0EEEEDaS16_S17_EUlS16_E_NS1_11comp_targetILNS1_3genE2ELNS1_11target_archE906ELNS1_3gpuE6ELNS1_3repE0EEENS1_30default_config_static_selectorELNS0_4arch9wavefront6targetE0EEEvT1_
                                        ; -- End function
	.set _ZN7rocprim17ROCPRIM_400000_NS6detail17trampoline_kernelINS0_14default_configENS1_25partition_config_selectorILNS1_17partition_subalgoE5EiNS0_10empty_typeEbEEZZNS1_14partition_implILS5_5ELb0ES3_mN6thrust23THRUST_200600_302600_NS17counting_iteratorIiNSA_11use_defaultESC_SC_EEPS6_NSA_18transform_iteratorINSA_8identityIiEENSA_6detail15normal_iteratorINSA_10device_ptrIiEEEESC_SC_EENS0_5tupleIJSM_S6_EEENSO_IJSE_SE_EEES6_PlJS6_EEE10hipError_tPvRmT3_T4_T5_T6_T7_T9_mT8_P12ihipStream_tbDpT10_ENKUlT_T0_E_clISt17integral_constantIbLb1EES1A_IbLb0EEEEDaS16_S17_EUlS16_E_NS1_11comp_targetILNS1_3genE2ELNS1_11target_archE906ELNS1_3gpuE6ELNS1_3repE0EEENS1_30default_config_static_selectorELNS0_4arch9wavefront6targetE0EEEvT1_.num_vgpr, 0
	.set _ZN7rocprim17ROCPRIM_400000_NS6detail17trampoline_kernelINS0_14default_configENS1_25partition_config_selectorILNS1_17partition_subalgoE5EiNS0_10empty_typeEbEEZZNS1_14partition_implILS5_5ELb0ES3_mN6thrust23THRUST_200600_302600_NS17counting_iteratorIiNSA_11use_defaultESC_SC_EEPS6_NSA_18transform_iteratorINSA_8identityIiEENSA_6detail15normal_iteratorINSA_10device_ptrIiEEEESC_SC_EENS0_5tupleIJSM_S6_EEENSO_IJSE_SE_EEES6_PlJS6_EEE10hipError_tPvRmT3_T4_T5_T6_T7_T9_mT8_P12ihipStream_tbDpT10_ENKUlT_T0_E_clISt17integral_constantIbLb1EES1A_IbLb0EEEEDaS16_S17_EUlS16_E_NS1_11comp_targetILNS1_3genE2ELNS1_11target_archE906ELNS1_3gpuE6ELNS1_3repE0EEENS1_30default_config_static_selectorELNS0_4arch9wavefront6targetE0EEEvT1_.num_agpr, 0
	.set _ZN7rocprim17ROCPRIM_400000_NS6detail17trampoline_kernelINS0_14default_configENS1_25partition_config_selectorILNS1_17partition_subalgoE5EiNS0_10empty_typeEbEEZZNS1_14partition_implILS5_5ELb0ES3_mN6thrust23THRUST_200600_302600_NS17counting_iteratorIiNSA_11use_defaultESC_SC_EEPS6_NSA_18transform_iteratorINSA_8identityIiEENSA_6detail15normal_iteratorINSA_10device_ptrIiEEEESC_SC_EENS0_5tupleIJSM_S6_EEENSO_IJSE_SE_EEES6_PlJS6_EEE10hipError_tPvRmT3_T4_T5_T6_T7_T9_mT8_P12ihipStream_tbDpT10_ENKUlT_T0_E_clISt17integral_constantIbLb1EES1A_IbLb0EEEEDaS16_S17_EUlS16_E_NS1_11comp_targetILNS1_3genE2ELNS1_11target_archE906ELNS1_3gpuE6ELNS1_3repE0EEENS1_30default_config_static_selectorELNS0_4arch9wavefront6targetE0EEEvT1_.numbered_sgpr, 0
	.set _ZN7rocprim17ROCPRIM_400000_NS6detail17trampoline_kernelINS0_14default_configENS1_25partition_config_selectorILNS1_17partition_subalgoE5EiNS0_10empty_typeEbEEZZNS1_14partition_implILS5_5ELb0ES3_mN6thrust23THRUST_200600_302600_NS17counting_iteratorIiNSA_11use_defaultESC_SC_EEPS6_NSA_18transform_iteratorINSA_8identityIiEENSA_6detail15normal_iteratorINSA_10device_ptrIiEEEESC_SC_EENS0_5tupleIJSM_S6_EEENSO_IJSE_SE_EEES6_PlJS6_EEE10hipError_tPvRmT3_T4_T5_T6_T7_T9_mT8_P12ihipStream_tbDpT10_ENKUlT_T0_E_clISt17integral_constantIbLb1EES1A_IbLb0EEEEDaS16_S17_EUlS16_E_NS1_11comp_targetILNS1_3genE2ELNS1_11target_archE906ELNS1_3gpuE6ELNS1_3repE0EEENS1_30default_config_static_selectorELNS0_4arch9wavefront6targetE0EEEvT1_.num_named_barrier, 0
	.set _ZN7rocprim17ROCPRIM_400000_NS6detail17trampoline_kernelINS0_14default_configENS1_25partition_config_selectorILNS1_17partition_subalgoE5EiNS0_10empty_typeEbEEZZNS1_14partition_implILS5_5ELb0ES3_mN6thrust23THRUST_200600_302600_NS17counting_iteratorIiNSA_11use_defaultESC_SC_EEPS6_NSA_18transform_iteratorINSA_8identityIiEENSA_6detail15normal_iteratorINSA_10device_ptrIiEEEESC_SC_EENS0_5tupleIJSM_S6_EEENSO_IJSE_SE_EEES6_PlJS6_EEE10hipError_tPvRmT3_T4_T5_T6_T7_T9_mT8_P12ihipStream_tbDpT10_ENKUlT_T0_E_clISt17integral_constantIbLb1EES1A_IbLb0EEEEDaS16_S17_EUlS16_E_NS1_11comp_targetILNS1_3genE2ELNS1_11target_archE906ELNS1_3gpuE6ELNS1_3repE0EEENS1_30default_config_static_selectorELNS0_4arch9wavefront6targetE0EEEvT1_.private_seg_size, 0
	.set _ZN7rocprim17ROCPRIM_400000_NS6detail17trampoline_kernelINS0_14default_configENS1_25partition_config_selectorILNS1_17partition_subalgoE5EiNS0_10empty_typeEbEEZZNS1_14partition_implILS5_5ELb0ES3_mN6thrust23THRUST_200600_302600_NS17counting_iteratorIiNSA_11use_defaultESC_SC_EEPS6_NSA_18transform_iteratorINSA_8identityIiEENSA_6detail15normal_iteratorINSA_10device_ptrIiEEEESC_SC_EENS0_5tupleIJSM_S6_EEENSO_IJSE_SE_EEES6_PlJS6_EEE10hipError_tPvRmT3_T4_T5_T6_T7_T9_mT8_P12ihipStream_tbDpT10_ENKUlT_T0_E_clISt17integral_constantIbLb1EES1A_IbLb0EEEEDaS16_S17_EUlS16_E_NS1_11comp_targetILNS1_3genE2ELNS1_11target_archE906ELNS1_3gpuE6ELNS1_3repE0EEENS1_30default_config_static_selectorELNS0_4arch9wavefront6targetE0EEEvT1_.uses_vcc, 0
	.set _ZN7rocprim17ROCPRIM_400000_NS6detail17trampoline_kernelINS0_14default_configENS1_25partition_config_selectorILNS1_17partition_subalgoE5EiNS0_10empty_typeEbEEZZNS1_14partition_implILS5_5ELb0ES3_mN6thrust23THRUST_200600_302600_NS17counting_iteratorIiNSA_11use_defaultESC_SC_EEPS6_NSA_18transform_iteratorINSA_8identityIiEENSA_6detail15normal_iteratorINSA_10device_ptrIiEEEESC_SC_EENS0_5tupleIJSM_S6_EEENSO_IJSE_SE_EEES6_PlJS6_EEE10hipError_tPvRmT3_T4_T5_T6_T7_T9_mT8_P12ihipStream_tbDpT10_ENKUlT_T0_E_clISt17integral_constantIbLb1EES1A_IbLb0EEEEDaS16_S17_EUlS16_E_NS1_11comp_targetILNS1_3genE2ELNS1_11target_archE906ELNS1_3gpuE6ELNS1_3repE0EEENS1_30default_config_static_selectorELNS0_4arch9wavefront6targetE0EEEvT1_.uses_flat_scratch, 0
	.set _ZN7rocprim17ROCPRIM_400000_NS6detail17trampoline_kernelINS0_14default_configENS1_25partition_config_selectorILNS1_17partition_subalgoE5EiNS0_10empty_typeEbEEZZNS1_14partition_implILS5_5ELb0ES3_mN6thrust23THRUST_200600_302600_NS17counting_iteratorIiNSA_11use_defaultESC_SC_EEPS6_NSA_18transform_iteratorINSA_8identityIiEENSA_6detail15normal_iteratorINSA_10device_ptrIiEEEESC_SC_EENS0_5tupleIJSM_S6_EEENSO_IJSE_SE_EEES6_PlJS6_EEE10hipError_tPvRmT3_T4_T5_T6_T7_T9_mT8_P12ihipStream_tbDpT10_ENKUlT_T0_E_clISt17integral_constantIbLb1EES1A_IbLb0EEEEDaS16_S17_EUlS16_E_NS1_11comp_targetILNS1_3genE2ELNS1_11target_archE906ELNS1_3gpuE6ELNS1_3repE0EEENS1_30default_config_static_selectorELNS0_4arch9wavefront6targetE0EEEvT1_.has_dyn_sized_stack, 0
	.set _ZN7rocprim17ROCPRIM_400000_NS6detail17trampoline_kernelINS0_14default_configENS1_25partition_config_selectorILNS1_17partition_subalgoE5EiNS0_10empty_typeEbEEZZNS1_14partition_implILS5_5ELb0ES3_mN6thrust23THRUST_200600_302600_NS17counting_iteratorIiNSA_11use_defaultESC_SC_EEPS6_NSA_18transform_iteratorINSA_8identityIiEENSA_6detail15normal_iteratorINSA_10device_ptrIiEEEESC_SC_EENS0_5tupleIJSM_S6_EEENSO_IJSE_SE_EEES6_PlJS6_EEE10hipError_tPvRmT3_T4_T5_T6_T7_T9_mT8_P12ihipStream_tbDpT10_ENKUlT_T0_E_clISt17integral_constantIbLb1EES1A_IbLb0EEEEDaS16_S17_EUlS16_E_NS1_11comp_targetILNS1_3genE2ELNS1_11target_archE906ELNS1_3gpuE6ELNS1_3repE0EEENS1_30default_config_static_selectorELNS0_4arch9wavefront6targetE0EEEvT1_.has_recursion, 0
	.set _ZN7rocprim17ROCPRIM_400000_NS6detail17trampoline_kernelINS0_14default_configENS1_25partition_config_selectorILNS1_17partition_subalgoE5EiNS0_10empty_typeEbEEZZNS1_14partition_implILS5_5ELb0ES3_mN6thrust23THRUST_200600_302600_NS17counting_iteratorIiNSA_11use_defaultESC_SC_EEPS6_NSA_18transform_iteratorINSA_8identityIiEENSA_6detail15normal_iteratorINSA_10device_ptrIiEEEESC_SC_EENS0_5tupleIJSM_S6_EEENSO_IJSE_SE_EEES6_PlJS6_EEE10hipError_tPvRmT3_T4_T5_T6_T7_T9_mT8_P12ihipStream_tbDpT10_ENKUlT_T0_E_clISt17integral_constantIbLb1EES1A_IbLb0EEEEDaS16_S17_EUlS16_E_NS1_11comp_targetILNS1_3genE2ELNS1_11target_archE906ELNS1_3gpuE6ELNS1_3repE0EEENS1_30default_config_static_selectorELNS0_4arch9wavefront6targetE0EEEvT1_.has_indirect_call, 0
	.section	.AMDGPU.csdata,"",@progbits
; Kernel info:
; codeLenInByte = 0
; TotalNumSgprs: 0
; NumVgprs: 0
; ScratchSize: 0
; MemoryBound: 0
; FloatMode: 240
; IeeeMode: 1
; LDSByteSize: 0 bytes/workgroup (compile time only)
; SGPRBlocks: 0
; VGPRBlocks: 0
; NumSGPRsForWavesPerEU: 1
; NumVGPRsForWavesPerEU: 1
; Occupancy: 16
; WaveLimiterHint : 0
; COMPUTE_PGM_RSRC2:SCRATCH_EN: 0
; COMPUTE_PGM_RSRC2:USER_SGPR: 2
; COMPUTE_PGM_RSRC2:TRAP_HANDLER: 0
; COMPUTE_PGM_RSRC2:TGID_X_EN: 1
; COMPUTE_PGM_RSRC2:TGID_Y_EN: 0
; COMPUTE_PGM_RSRC2:TGID_Z_EN: 0
; COMPUTE_PGM_RSRC2:TIDIG_COMP_CNT: 0
	.section	.text._ZN7rocprim17ROCPRIM_400000_NS6detail17trampoline_kernelINS0_14default_configENS1_25partition_config_selectorILNS1_17partition_subalgoE5EiNS0_10empty_typeEbEEZZNS1_14partition_implILS5_5ELb0ES3_mN6thrust23THRUST_200600_302600_NS17counting_iteratorIiNSA_11use_defaultESC_SC_EEPS6_NSA_18transform_iteratorINSA_8identityIiEENSA_6detail15normal_iteratorINSA_10device_ptrIiEEEESC_SC_EENS0_5tupleIJSM_S6_EEENSO_IJSE_SE_EEES6_PlJS6_EEE10hipError_tPvRmT3_T4_T5_T6_T7_T9_mT8_P12ihipStream_tbDpT10_ENKUlT_T0_E_clISt17integral_constantIbLb1EES1A_IbLb0EEEEDaS16_S17_EUlS16_E_NS1_11comp_targetILNS1_3genE10ELNS1_11target_archE1200ELNS1_3gpuE4ELNS1_3repE0EEENS1_30default_config_static_selectorELNS0_4arch9wavefront6targetE0EEEvT1_,"axG",@progbits,_ZN7rocprim17ROCPRIM_400000_NS6detail17trampoline_kernelINS0_14default_configENS1_25partition_config_selectorILNS1_17partition_subalgoE5EiNS0_10empty_typeEbEEZZNS1_14partition_implILS5_5ELb0ES3_mN6thrust23THRUST_200600_302600_NS17counting_iteratorIiNSA_11use_defaultESC_SC_EEPS6_NSA_18transform_iteratorINSA_8identityIiEENSA_6detail15normal_iteratorINSA_10device_ptrIiEEEESC_SC_EENS0_5tupleIJSM_S6_EEENSO_IJSE_SE_EEES6_PlJS6_EEE10hipError_tPvRmT3_T4_T5_T6_T7_T9_mT8_P12ihipStream_tbDpT10_ENKUlT_T0_E_clISt17integral_constantIbLb1EES1A_IbLb0EEEEDaS16_S17_EUlS16_E_NS1_11comp_targetILNS1_3genE10ELNS1_11target_archE1200ELNS1_3gpuE4ELNS1_3repE0EEENS1_30default_config_static_selectorELNS0_4arch9wavefront6targetE0EEEvT1_,comdat
	.protected	_ZN7rocprim17ROCPRIM_400000_NS6detail17trampoline_kernelINS0_14default_configENS1_25partition_config_selectorILNS1_17partition_subalgoE5EiNS0_10empty_typeEbEEZZNS1_14partition_implILS5_5ELb0ES3_mN6thrust23THRUST_200600_302600_NS17counting_iteratorIiNSA_11use_defaultESC_SC_EEPS6_NSA_18transform_iteratorINSA_8identityIiEENSA_6detail15normal_iteratorINSA_10device_ptrIiEEEESC_SC_EENS0_5tupleIJSM_S6_EEENSO_IJSE_SE_EEES6_PlJS6_EEE10hipError_tPvRmT3_T4_T5_T6_T7_T9_mT8_P12ihipStream_tbDpT10_ENKUlT_T0_E_clISt17integral_constantIbLb1EES1A_IbLb0EEEEDaS16_S17_EUlS16_E_NS1_11comp_targetILNS1_3genE10ELNS1_11target_archE1200ELNS1_3gpuE4ELNS1_3repE0EEENS1_30default_config_static_selectorELNS0_4arch9wavefront6targetE0EEEvT1_ ; -- Begin function _ZN7rocprim17ROCPRIM_400000_NS6detail17trampoline_kernelINS0_14default_configENS1_25partition_config_selectorILNS1_17partition_subalgoE5EiNS0_10empty_typeEbEEZZNS1_14partition_implILS5_5ELb0ES3_mN6thrust23THRUST_200600_302600_NS17counting_iteratorIiNSA_11use_defaultESC_SC_EEPS6_NSA_18transform_iteratorINSA_8identityIiEENSA_6detail15normal_iteratorINSA_10device_ptrIiEEEESC_SC_EENS0_5tupleIJSM_S6_EEENSO_IJSE_SE_EEES6_PlJS6_EEE10hipError_tPvRmT3_T4_T5_T6_T7_T9_mT8_P12ihipStream_tbDpT10_ENKUlT_T0_E_clISt17integral_constantIbLb1EES1A_IbLb0EEEEDaS16_S17_EUlS16_E_NS1_11comp_targetILNS1_3genE10ELNS1_11target_archE1200ELNS1_3gpuE4ELNS1_3repE0EEENS1_30default_config_static_selectorELNS0_4arch9wavefront6targetE0EEEvT1_
	.globl	_ZN7rocprim17ROCPRIM_400000_NS6detail17trampoline_kernelINS0_14default_configENS1_25partition_config_selectorILNS1_17partition_subalgoE5EiNS0_10empty_typeEbEEZZNS1_14partition_implILS5_5ELb0ES3_mN6thrust23THRUST_200600_302600_NS17counting_iteratorIiNSA_11use_defaultESC_SC_EEPS6_NSA_18transform_iteratorINSA_8identityIiEENSA_6detail15normal_iteratorINSA_10device_ptrIiEEEESC_SC_EENS0_5tupleIJSM_S6_EEENSO_IJSE_SE_EEES6_PlJS6_EEE10hipError_tPvRmT3_T4_T5_T6_T7_T9_mT8_P12ihipStream_tbDpT10_ENKUlT_T0_E_clISt17integral_constantIbLb1EES1A_IbLb0EEEEDaS16_S17_EUlS16_E_NS1_11comp_targetILNS1_3genE10ELNS1_11target_archE1200ELNS1_3gpuE4ELNS1_3repE0EEENS1_30default_config_static_selectorELNS0_4arch9wavefront6targetE0EEEvT1_
	.p2align	8
	.type	_ZN7rocprim17ROCPRIM_400000_NS6detail17trampoline_kernelINS0_14default_configENS1_25partition_config_selectorILNS1_17partition_subalgoE5EiNS0_10empty_typeEbEEZZNS1_14partition_implILS5_5ELb0ES3_mN6thrust23THRUST_200600_302600_NS17counting_iteratorIiNSA_11use_defaultESC_SC_EEPS6_NSA_18transform_iteratorINSA_8identityIiEENSA_6detail15normal_iteratorINSA_10device_ptrIiEEEESC_SC_EENS0_5tupleIJSM_S6_EEENSO_IJSE_SE_EEES6_PlJS6_EEE10hipError_tPvRmT3_T4_T5_T6_T7_T9_mT8_P12ihipStream_tbDpT10_ENKUlT_T0_E_clISt17integral_constantIbLb1EES1A_IbLb0EEEEDaS16_S17_EUlS16_E_NS1_11comp_targetILNS1_3genE10ELNS1_11target_archE1200ELNS1_3gpuE4ELNS1_3repE0EEENS1_30default_config_static_selectorELNS0_4arch9wavefront6targetE0EEEvT1_,@function
_ZN7rocprim17ROCPRIM_400000_NS6detail17trampoline_kernelINS0_14default_configENS1_25partition_config_selectorILNS1_17partition_subalgoE5EiNS0_10empty_typeEbEEZZNS1_14partition_implILS5_5ELb0ES3_mN6thrust23THRUST_200600_302600_NS17counting_iteratorIiNSA_11use_defaultESC_SC_EEPS6_NSA_18transform_iteratorINSA_8identityIiEENSA_6detail15normal_iteratorINSA_10device_ptrIiEEEESC_SC_EENS0_5tupleIJSM_S6_EEENSO_IJSE_SE_EEES6_PlJS6_EEE10hipError_tPvRmT3_T4_T5_T6_T7_T9_mT8_P12ihipStream_tbDpT10_ENKUlT_T0_E_clISt17integral_constantIbLb1EES1A_IbLb0EEEEDaS16_S17_EUlS16_E_NS1_11comp_targetILNS1_3genE10ELNS1_11target_archE1200ELNS1_3gpuE4ELNS1_3repE0EEENS1_30default_config_static_selectorELNS0_4arch9wavefront6targetE0EEEvT1_: ; @_ZN7rocprim17ROCPRIM_400000_NS6detail17trampoline_kernelINS0_14default_configENS1_25partition_config_selectorILNS1_17partition_subalgoE5EiNS0_10empty_typeEbEEZZNS1_14partition_implILS5_5ELb0ES3_mN6thrust23THRUST_200600_302600_NS17counting_iteratorIiNSA_11use_defaultESC_SC_EEPS6_NSA_18transform_iteratorINSA_8identityIiEENSA_6detail15normal_iteratorINSA_10device_ptrIiEEEESC_SC_EENS0_5tupleIJSM_S6_EEENSO_IJSE_SE_EEES6_PlJS6_EEE10hipError_tPvRmT3_T4_T5_T6_T7_T9_mT8_P12ihipStream_tbDpT10_ENKUlT_T0_E_clISt17integral_constantIbLb1EES1A_IbLb0EEEEDaS16_S17_EUlS16_E_NS1_11comp_targetILNS1_3genE10ELNS1_11target_archE1200ELNS1_3gpuE4ELNS1_3repE0EEENS1_30default_config_static_selectorELNS0_4arch9wavefront6targetE0EEEvT1_
; %bb.0:
	s_endpgm
	.section	.rodata,"a",@progbits
	.p2align	6, 0x0
	.amdhsa_kernel _ZN7rocprim17ROCPRIM_400000_NS6detail17trampoline_kernelINS0_14default_configENS1_25partition_config_selectorILNS1_17partition_subalgoE5EiNS0_10empty_typeEbEEZZNS1_14partition_implILS5_5ELb0ES3_mN6thrust23THRUST_200600_302600_NS17counting_iteratorIiNSA_11use_defaultESC_SC_EEPS6_NSA_18transform_iteratorINSA_8identityIiEENSA_6detail15normal_iteratorINSA_10device_ptrIiEEEESC_SC_EENS0_5tupleIJSM_S6_EEENSO_IJSE_SE_EEES6_PlJS6_EEE10hipError_tPvRmT3_T4_T5_T6_T7_T9_mT8_P12ihipStream_tbDpT10_ENKUlT_T0_E_clISt17integral_constantIbLb1EES1A_IbLb0EEEEDaS16_S17_EUlS16_E_NS1_11comp_targetILNS1_3genE10ELNS1_11target_archE1200ELNS1_3gpuE4ELNS1_3repE0EEENS1_30default_config_static_selectorELNS0_4arch9wavefront6targetE0EEEvT1_
		.amdhsa_group_segment_fixed_size 0
		.amdhsa_private_segment_fixed_size 0
		.amdhsa_kernarg_size 120
		.amdhsa_user_sgpr_count 2
		.amdhsa_user_sgpr_dispatch_ptr 0
		.amdhsa_user_sgpr_queue_ptr 0
		.amdhsa_user_sgpr_kernarg_segment_ptr 1
		.amdhsa_user_sgpr_dispatch_id 0
		.amdhsa_user_sgpr_private_segment_size 0
		.amdhsa_wavefront_size32 1
		.amdhsa_uses_dynamic_stack 0
		.amdhsa_enable_private_segment 0
		.amdhsa_system_sgpr_workgroup_id_x 1
		.amdhsa_system_sgpr_workgroup_id_y 0
		.amdhsa_system_sgpr_workgroup_id_z 0
		.amdhsa_system_sgpr_workgroup_info 0
		.amdhsa_system_vgpr_workitem_id 0
		.amdhsa_next_free_vgpr 1
		.amdhsa_next_free_sgpr 1
		.amdhsa_reserve_vcc 0
		.amdhsa_float_round_mode_32 0
		.amdhsa_float_round_mode_16_64 0
		.amdhsa_float_denorm_mode_32 3
		.amdhsa_float_denorm_mode_16_64 3
		.amdhsa_fp16_overflow 0
		.amdhsa_workgroup_processor_mode 1
		.amdhsa_memory_ordered 1
		.amdhsa_forward_progress 1
		.amdhsa_inst_pref_size 1
		.amdhsa_round_robin_scheduling 0
		.amdhsa_exception_fp_ieee_invalid_op 0
		.amdhsa_exception_fp_denorm_src 0
		.amdhsa_exception_fp_ieee_div_zero 0
		.amdhsa_exception_fp_ieee_overflow 0
		.amdhsa_exception_fp_ieee_underflow 0
		.amdhsa_exception_fp_ieee_inexact 0
		.amdhsa_exception_int_div_zero 0
	.end_amdhsa_kernel
	.section	.text._ZN7rocprim17ROCPRIM_400000_NS6detail17trampoline_kernelINS0_14default_configENS1_25partition_config_selectorILNS1_17partition_subalgoE5EiNS0_10empty_typeEbEEZZNS1_14partition_implILS5_5ELb0ES3_mN6thrust23THRUST_200600_302600_NS17counting_iteratorIiNSA_11use_defaultESC_SC_EEPS6_NSA_18transform_iteratorINSA_8identityIiEENSA_6detail15normal_iteratorINSA_10device_ptrIiEEEESC_SC_EENS0_5tupleIJSM_S6_EEENSO_IJSE_SE_EEES6_PlJS6_EEE10hipError_tPvRmT3_T4_T5_T6_T7_T9_mT8_P12ihipStream_tbDpT10_ENKUlT_T0_E_clISt17integral_constantIbLb1EES1A_IbLb0EEEEDaS16_S17_EUlS16_E_NS1_11comp_targetILNS1_3genE10ELNS1_11target_archE1200ELNS1_3gpuE4ELNS1_3repE0EEENS1_30default_config_static_selectorELNS0_4arch9wavefront6targetE0EEEvT1_,"axG",@progbits,_ZN7rocprim17ROCPRIM_400000_NS6detail17trampoline_kernelINS0_14default_configENS1_25partition_config_selectorILNS1_17partition_subalgoE5EiNS0_10empty_typeEbEEZZNS1_14partition_implILS5_5ELb0ES3_mN6thrust23THRUST_200600_302600_NS17counting_iteratorIiNSA_11use_defaultESC_SC_EEPS6_NSA_18transform_iteratorINSA_8identityIiEENSA_6detail15normal_iteratorINSA_10device_ptrIiEEEESC_SC_EENS0_5tupleIJSM_S6_EEENSO_IJSE_SE_EEES6_PlJS6_EEE10hipError_tPvRmT3_T4_T5_T6_T7_T9_mT8_P12ihipStream_tbDpT10_ENKUlT_T0_E_clISt17integral_constantIbLb1EES1A_IbLb0EEEEDaS16_S17_EUlS16_E_NS1_11comp_targetILNS1_3genE10ELNS1_11target_archE1200ELNS1_3gpuE4ELNS1_3repE0EEENS1_30default_config_static_selectorELNS0_4arch9wavefront6targetE0EEEvT1_,comdat
.Lfunc_end33:
	.size	_ZN7rocprim17ROCPRIM_400000_NS6detail17trampoline_kernelINS0_14default_configENS1_25partition_config_selectorILNS1_17partition_subalgoE5EiNS0_10empty_typeEbEEZZNS1_14partition_implILS5_5ELb0ES3_mN6thrust23THRUST_200600_302600_NS17counting_iteratorIiNSA_11use_defaultESC_SC_EEPS6_NSA_18transform_iteratorINSA_8identityIiEENSA_6detail15normal_iteratorINSA_10device_ptrIiEEEESC_SC_EENS0_5tupleIJSM_S6_EEENSO_IJSE_SE_EEES6_PlJS6_EEE10hipError_tPvRmT3_T4_T5_T6_T7_T9_mT8_P12ihipStream_tbDpT10_ENKUlT_T0_E_clISt17integral_constantIbLb1EES1A_IbLb0EEEEDaS16_S17_EUlS16_E_NS1_11comp_targetILNS1_3genE10ELNS1_11target_archE1200ELNS1_3gpuE4ELNS1_3repE0EEENS1_30default_config_static_selectorELNS0_4arch9wavefront6targetE0EEEvT1_, .Lfunc_end33-_ZN7rocprim17ROCPRIM_400000_NS6detail17trampoline_kernelINS0_14default_configENS1_25partition_config_selectorILNS1_17partition_subalgoE5EiNS0_10empty_typeEbEEZZNS1_14partition_implILS5_5ELb0ES3_mN6thrust23THRUST_200600_302600_NS17counting_iteratorIiNSA_11use_defaultESC_SC_EEPS6_NSA_18transform_iteratorINSA_8identityIiEENSA_6detail15normal_iteratorINSA_10device_ptrIiEEEESC_SC_EENS0_5tupleIJSM_S6_EEENSO_IJSE_SE_EEES6_PlJS6_EEE10hipError_tPvRmT3_T4_T5_T6_T7_T9_mT8_P12ihipStream_tbDpT10_ENKUlT_T0_E_clISt17integral_constantIbLb1EES1A_IbLb0EEEEDaS16_S17_EUlS16_E_NS1_11comp_targetILNS1_3genE10ELNS1_11target_archE1200ELNS1_3gpuE4ELNS1_3repE0EEENS1_30default_config_static_selectorELNS0_4arch9wavefront6targetE0EEEvT1_
                                        ; -- End function
	.set _ZN7rocprim17ROCPRIM_400000_NS6detail17trampoline_kernelINS0_14default_configENS1_25partition_config_selectorILNS1_17partition_subalgoE5EiNS0_10empty_typeEbEEZZNS1_14partition_implILS5_5ELb0ES3_mN6thrust23THRUST_200600_302600_NS17counting_iteratorIiNSA_11use_defaultESC_SC_EEPS6_NSA_18transform_iteratorINSA_8identityIiEENSA_6detail15normal_iteratorINSA_10device_ptrIiEEEESC_SC_EENS0_5tupleIJSM_S6_EEENSO_IJSE_SE_EEES6_PlJS6_EEE10hipError_tPvRmT3_T4_T5_T6_T7_T9_mT8_P12ihipStream_tbDpT10_ENKUlT_T0_E_clISt17integral_constantIbLb1EES1A_IbLb0EEEEDaS16_S17_EUlS16_E_NS1_11comp_targetILNS1_3genE10ELNS1_11target_archE1200ELNS1_3gpuE4ELNS1_3repE0EEENS1_30default_config_static_selectorELNS0_4arch9wavefront6targetE0EEEvT1_.num_vgpr, 0
	.set _ZN7rocprim17ROCPRIM_400000_NS6detail17trampoline_kernelINS0_14default_configENS1_25partition_config_selectorILNS1_17partition_subalgoE5EiNS0_10empty_typeEbEEZZNS1_14partition_implILS5_5ELb0ES3_mN6thrust23THRUST_200600_302600_NS17counting_iteratorIiNSA_11use_defaultESC_SC_EEPS6_NSA_18transform_iteratorINSA_8identityIiEENSA_6detail15normal_iteratorINSA_10device_ptrIiEEEESC_SC_EENS0_5tupleIJSM_S6_EEENSO_IJSE_SE_EEES6_PlJS6_EEE10hipError_tPvRmT3_T4_T5_T6_T7_T9_mT8_P12ihipStream_tbDpT10_ENKUlT_T0_E_clISt17integral_constantIbLb1EES1A_IbLb0EEEEDaS16_S17_EUlS16_E_NS1_11comp_targetILNS1_3genE10ELNS1_11target_archE1200ELNS1_3gpuE4ELNS1_3repE0EEENS1_30default_config_static_selectorELNS0_4arch9wavefront6targetE0EEEvT1_.num_agpr, 0
	.set _ZN7rocprim17ROCPRIM_400000_NS6detail17trampoline_kernelINS0_14default_configENS1_25partition_config_selectorILNS1_17partition_subalgoE5EiNS0_10empty_typeEbEEZZNS1_14partition_implILS5_5ELb0ES3_mN6thrust23THRUST_200600_302600_NS17counting_iteratorIiNSA_11use_defaultESC_SC_EEPS6_NSA_18transform_iteratorINSA_8identityIiEENSA_6detail15normal_iteratorINSA_10device_ptrIiEEEESC_SC_EENS0_5tupleIJSM_S6_EEENSO_IJSE_SE_EEES6_PlJS6_EEE10hipError_tPvRmT3_T4_T5_T6_T7_T9_mT8_P12ihipStream_tbDpT10_ENKUlT_T0_E_clISt17integral_constantIbLb1EES1A_IbLb0EEEEDaS16_S17_EUlS16_E_NS1_11comp_targetILNS1_3genE10ELNS1_11target_archE1200ELNS1_3gpuE4ELNS1_3repE0EEENS1_30default_config_static_selectorELNS0_4arch9wavefront6targetE0EEEvT1_.numbered_sgpr, 0
	.set _ZN7rocprim17ROCPRIM_400000_NS6detail17trampoline_kernelINS0_14default_configENS1_25partition_config_selectorILNS1_17partition_subalgoE5EiNS0_10empty_typeEbEEZZNS1_14partition_implILS5_5ELb0ES3_mN6thrust23THRUST_200600_302600_NS17counting_iteratorIiNSA_11use_defaultESC_SC_EEPS6_NSA_18transform_iteratorINSA_8identityIiEENSA_6detail15normal_iteratorINSA_10device_ptrIiEEEESC_SC_EENS0_5tupleIJSM_S6_EEENSO_IJSE_SE_EEES6_PlJS6_EEE10hipError_tPvRmT3_T4_T5_T6_T7_T9_mT8_P12ihipStream_tbDpT10_ENKUlT_T0_E_clISt17integral_constantIbLb1EES1A_IbLb0EEEEDaS16_S17_EUlS16_E_NS1_11comp_targetILNS1_3genE10ELNS1_11target_archE1200ELNS1_3gpuE4ELNS1_3repE0EEENS1_30default_config_static_selectorELNS0_4arch9wavefront6targetE0EEEvT1_.num_named_barrier, 0
	.set _ZN7rocprim17ROCPRIM_400000_NS6detail17trampoline_kernelINS0_14default_configENS1_25partition_config_selectorILNS1_17partition_subalgoE5EiNS0_10empty_typeEbEEZZNS1_14partition_implILS5_5ELb0ES3_mN6thrust23THRUST_200600_302600_NS17counting_iteratorIiNSA_11use_defaultESC_SC_EEPS6_NSA_18transform_iteratorINSA_8identityIiEENSA_6detail15normal_iteratorINSA_10device_ptrIiEEEESC_SC_EENS0_5tupleIJSM_S6_EEENSO_IJSE_SE_EEES6_PlJS6_EEE10hipError_tPvRmT3_T4_T5_T6_T7_T9_mT8_P12ihipStream_tbDpT10_ENKUlT_T0_E_clISt17integral_constantIbLb1EES1A_IbLb0EEEEDaS16_S17_EUlS16_E_NS1_11comp_targetILNS1_3genE10ELNS1_11target_archE1200ELNS1_3gpuE4ELNS1_3repE0EEENS1_30default_config_static_selectorELNS0_4arch9wavefront6targetE0EEEvT1_.private_seg_size, 0
	.set _ZN7rocprim17ROCPRIM_400000_NS6detail17trampoline_kernelINS0_14default_configENS1_25partition_config_selectorILNS1_17partition_subalgoE5EiNS0_10empty_typeEbEEZZNS1_14partition_implILS5_5ELb0ES3_mN6thrust23THRUST_200600_302600_NS17counting_iteratorIiNSA_11use_defaultESC_SC_EEPS6_NSA_18transform_iteratorINSA_8identityIiEENSA_6detail15normal_iteratorINSA_10device_ptrIiEEEESC_SC_EENS0_5tupleIJSM_S6_EEENSO_IJSE_SE_EEES6_PlJS6_EEE10hipError_tPvRmT3_T4_T5_T6_T7_T9_mT8_P12ihipStream_tbDpT10_ENKUlT_T0_E_clISt17integral_constantIbLb1EES1A_IbLb0EEEEDaS16_S17_EUlS16_E_NS1_11comp_targetILNS1_3genE10ELNS1_11target_archE1200ELNS1_3gpuE4ELNS1_3repE0EEENS1_30default_config_static_selectorELNS0_4arch9wavefront6targetE0EEEvT1_.uses_vcc, 0
	.set _ZN7rocprim17ROCPRIM_400000_NS6detail17trampoline_kernelINS0_14default_configENS1_25partition_config_selectorILNS1_17partition_subalgoE5EiNS0_10empty_typeEbEEZZNS1_14partition_implILS5_5ELb0ES3_mN6thrust23THRUST_200600_302600_NS17counting_iteratorIiNSA_11use_defaultESC_SC_EEPS6_NSA_18transform_iteratorINSA_8identityIiEENSA_6detail15normal_iteratorINSA_10device_ptrIiEEEESC_SC_EENS0_5tupleIJSM_S6_EEENSO_IJSE_SE_EEES6_PlJS6_EEE10hipError_tPvRmT3_T4_T5_T6_T7_T9_mT8_P12ihipStream_tbDpT10_ENKUlT_T0_E_clISt17integral_constantIbLb1EES1A_IbLb0EEEEDaS16_S17_EUlS16_E_NS1_11comp_targetILNS1_3genE10ELNS1_11target_archE1200ELNS1_3gpuE4ELNS1_3repE0EEENS1_30default_config_static_selectorELNS0_4arch9wavefront6targetE0EEEvT1_.uses_flat_scratch, 0
	.set _ZN7rocprim17ROCPRIM_400000_NS6detail17trampoline_kernelINS0_14default_configENS1_25partition_config_selectorILNS1_17partition_subalgoE5EiNS0_10empty_typeEbEEZZNS1_14partition_implILS5_5ELb0ES3_mN6thrust23THRUST_200600_302600_NS17counting_iteratorIiNSA_11use_defaultESC_SC_EEPS6_NSA_18transform_iteratorINSA_8identityIiEENSA_6detail15normal_iteratorINSA_10device_ptrIiEEEESC_SC_EENS0_5tupleIJSM_S6_EEENSO_IJSE_SE_EEES6_PlJS6_EEE10hipError_tPvRmT3_T4_T5_T6_T7_T9_mT8_P12ihipStream_tbDpT10_ENKUlT_T0_E_clISt17integral_constantIbLb1EES1A_IbLb0EEEEDaS16_S17_EUlS16_E_NS1_11comp_targetILNS1_3genE10ELNS1_11target_archE1200ELNS1_3gpuE4ELNS1_3repE0EEENS1_30default_config_static_selectorELNS0_4arch9wavefront6targetE0EEEvT1_.has_dyn_sized_stack, 0
	.set _ZN7rocprim17ROCPRIM_400000_NS6detail17trampoline_kernelINS0_14default_configENS1_25partition_config_selectorILNS1_17partition_subalgoE5EiNS0_10empty_typeEbEEZZNS1_14partition_implILS5_5ELb0ES3_mN6thrust23THRUST_200600_302600_NS17counting_iteratorIiNSA_11use_defaultESC_SC_EEPS6_NSA_18transform_iteratorINSA_8identityIiEENSA_6detail15normal_iteratorINSA_10device_ptrIiEEEESC_SC_EENS0_5tupleIJSM_S6_EEENSO_IJSE_SE_EEES6_PlJS6_EEE10hipError_tPvRmT3_T4_T5_T6_T7_T9_mT8_P12ihipStream_tbDpT10_ENKUlT_T0_E_clISt17integral_constantIbLb1EES1A_IbLb0EEEEDaS16_S17_EUlS16_E_NS1_11comp_targetILNS1_3genE10ELNS1_11target_archE1200ELNS1_3gpuE4ELNS1_3repE0EEENS1_30default_config_static_selectorELNS0_4arch9wavefront6targetE0EEEvT1_.has_recursion, 0
	.set _ZN7rocprim17ROCPRIM_400000_NS6detail17trampoline_kernelINS0_14default_configENS1_25partition_config_selectorILNS1_17partition_subalgoE5EiNS0_10empty_typeEbEEZZNS1_14partition_implILS5_5ELb0ES3_mN6thrust23THRUST_200600_302600_NS17counting_iteratorIiNSA_11use_defaultESC_SC_EEPS6_NSA_18transform_iteratorINSA_8identityIiEENSA_6detail15normal_iteratorINSA_10device_ptrIiEEEESC_SC_EENS0_5tupleIJSM_S6_EEENSO_IJSE_SE_EEES6_PlJS6_EEE10hipError_tPvRmT3_T4_T5_T6_T7_T9_mT8_P12ihipStream_tbDpT10_ENKUlT_T0_E_clISt17integral_constantIbLb1EES1A_IbLb0EEEEDaS16_S17_EUlS16_E_NS1_11comp_targetILNS1_3genE10ELNS1_11target_archE1200ELNS1_3gpuE4ELNS1_3repE0EEENS1_30default_config_static_selectorELNS0_4arch9wavefront6targetE0EEEvT1_.has_indirect_call, 0
	.section	.AMDGPU.csdata,"",@progbits
; Kernel info:
; codeLenInByte = 4
; TotalNumSgprs: 0
; NumVgprs: 0
; ScratchSize: 0
; MemoryBound: 0
; FloatMode: 240
; IeeeMode: 1
; LDSByteSize: 0 bytes/workgroup (compile time only)
; SGPRBlocks: 0
; VGPRBlocks: 0
; NumSGPRsForWavesPerEU: 1
; NumVGPRsForWavesPerEU: 1
; Occupancy: 16
; WaveLimiterHint : 0
; COMPUTE_PGM_RSRC2:SCRATCH_EN: 0
; COMPUTE_PGM_RSRC2:USER_SGPR: 2
; COMPUTE_PGM_RSRC2:TRAP_HANDLER: 0
; COMPUTE_PGM_RSRC2:TGID_X_EN: 1
; COMPUTE_PGM_RSRC2:TGID_Y_EN: 0
; COMPUTE_PGM_RSRC2:TGID_Z_EN: 0
; COMPUTE_PGM_RSRC2:TIDIG_COMP_CNT: 0
	.section	.text._ZN7rocprim17ROCPRIM_400000_NS6detail17trampoline_kernelINS0_14default_configENS1_25partition_config_selectorILNS1_17partition_subalgoE5EiNS0_10empty_typeEbEEZZNS1_14partition_implILS5_5ELb0ES3_mN6thrust23THRUST_200600_302600_NS17counting_iteratorIiNSA_11use_defaultESC_SC_EEPS6_NSA_18transform_iteratorINSA_8identityIiEENSA_6detail15normal_iteratorINSA_10device_ptrIiEEEESC_SC_EENS0_5tupleIJSM_S6_EEENSO_IJSE_SE_EEES6_PlJS6_EEE10hipError_tPvRmT3_T4_T5_T6_T7_T9_mT8_P12ihipStream_tbDpT10_ENKUlT_T0_E_clISt17integral_constantIbLb1EES1A_IbLb0EEEEDaS16_S17_EUlS16_E_NS1_11comp_targetILNS1_3genE9ELNS1_11target_archE1100ELNS1_3gpuE3ELNS1_3repE0EEENS1_30default_config_static_selectorELNS0_4arch9wavefront6targetE0EEEvT1_,"axG",@progbits,_ZN7rocprim17ROCPRIM_400000_NS6detail17trampoline_kernelINS0_14default_configENS1_25partition_config_selectorILNS1_17partition_subalgoE5EiNS0_10empty_typeEbEEZZNS1_14partition_implILS5_5ELb0ES3_mN6thrust23THRUST_200600_302600_NS17counting_iteratorIiNSA_11use_defaultESC_SC_EEPS6_NSA_18transform_iteratorINSA_8identityIiEENSA_6detail15normal_iteratorINSA_10device_ptrIiEEEESC_SC_EENS0_5tupleIJSM_S6_EEENSO_IJSE_SE_EEES6_PlJS6_EEE10hipError_tPvRmT3_T4_T5_T6_T7_T9_mT8_P12ihipStream_tbDpT10_ENKUlT_T0_E_clISt17integral_constantIbLb1EES1A_IbLb0EEEEDaS16_S17_EUlS16_E_NS1_11comp_targetILNS1_3genE9ELNS1_11target_archE1100ELNS1_3gpuE3ELNS1_3repE0EEENS1_30default_config_static_selectorELNS0_4arch9wavefront6targetE0EEEvT1_,comdat
	.protected	_ZN7rocprim17ROCPRIM_400000_NS6detail17trampoline_kernelINS0_14default_configENS1_25partition_config_selectorILNS1_17partition_subalgoE5EiNS0_10empty_typeEbEEZZNS1_14partition_implILS5_5ELb0ES3_mN6thrust23THRUST_200600_302600_NS17counting_iteratorIiNSA_11use_defaultESC_SC_EEPS6_NSA_18transform_iteratorINSA_8identityIiEENSA_6detail15normal_iteratorINSA_10device_ptrIiEEEESC_SC_EENS0_5tupleIJSM_S6_EEENSO_IJSE_SE_EEES6_PlJS6_EEE10hipError_tPvRmT3_T4_T5_T6_T7_T9_mT8_P12ihipStream_tbDpT10_ENKUlT_T0_E_clISt17integral_constantIbLb1EES1A_IbLb0EEEEDaS16_S17_EUlS16_E_NS1_11comp_targetILNS1_3genE9ELNS1_11target_archE1100ELNS1_3gpuE3ELNS1_3repE0EEENS1_30default_config_static_selectorELNS0_4arch9wavefront6targetE0EEEvT1_ ; -- Begin function _ZN7rocprim17ROCPRIM_400000_NS6detail17trampoline_kernelINS0_14default_configENS1_25partition_config_selectorILNS1_17partition_subalgoE5EiNS0_10empty_typeEbEEZZNS1_14partition_implILS5_5ELb0ES3_mN6thrust23THRUST_200600_302600_NS17counting_iteratorIiNSA_11use_defaultESC_SC_EEPS6_NSA_18transform_iteratorINSA_8identityIiEENSA_6detail15normal_iteratorINSA_10device_ptrIiEEEESC_SC_EENS0_5tupleIJSM_S6_EEENSO_IJSE_SE_EEES6_PlJS6_EEE10hipError_tPvRmT3_T4_T5_T6_T7_T9_mT8_P12ihipStream_tbDpT10_ENKUlT_T0_E_clISt17integral_constantIbLb1EES1A_IbLb0EEEEDaS16_S17_EUlS16_E_NS1_11comp_targetILNS1_3genE9ELNS1_11target_archE1100ELNS1_3gpuE3ELNS1_3repE0EEENS1_30default_config_static_selectorELNS0_4arch9wavefront6targetE0EEEvT1_
	.globl	_ZN7rocprim17ROCPRIM_400000_NS6detail17trampoline_kernelINS0_14default_configENS1_25partition_config_selectorILNS1_17partition_subalgoE5EiNS0_10empty_typeEbEEZZNS1_14partition_implILS5_5ELb0ES3_mN6thrust23THRUST_200600_302600_NS17counting_iteratorIiNSA_11use_defaultESC_SC_EEPS6_NSA_18transform_iteratorINSA_8identityIiEENSA_6detail15normal_iteratorINSA_10device_ptrIiEEEESC_SC_EENS0_5tupleIJSM_S6_EEENSO_IJSE_SE_EEES6_PlJS6_EEE10hipError_tPvRmT3_T4_T5_T6_T7_T9_mT8_P12ihipStream_tbDpT10_ENKUlT_T0_E_clISt17integral_constantIbLb1EES1A_IbLb0EEEEDaS16_S17_EUlS16_E_NS1_11comp_targetILNS1_3genE9ELNS1_11target_archE1100ELNS1_3gpuE3ELNS1_3repE0EEENS1_30default_config_static_selectorELNS0_4arch9wavefront6targetE0EEEvT1_
	.p2align	8
	.type	_ZN7rocprim17ROCPRIM_400000_NS6detail17trampoline_kernelINS0_14default_configENS1_25partition_config_selectorILNS1_17partition_subalgoE5EiNS0_10empty_typeEbEEZZNS1_14partition_implILS5_5ELb0ES3_mN6thrust23THRUST_200600_302600_NS17counting_iteratorIiNSA_11use_defaultESC_SC_EEPS6_NSA_18transform_iteratorINSA_8identityIiEENSA_6detail15normal_iteratorINSA_10device_ptrIiEEEESC_SC_EENS0_5tupleIJSM_S6_EEENSO_IJSE_SE_EEES6_PlJS6_EEE10hipError_tPvRmT3_T4_T5_T6_T7_T9_mT8_P12ihipStream_tbDpT10_ENKUlT_T0_E_clISt17integral_constantIbLb1EES1A_IbLb0EEEEDaS16_S17_EUlS16_E_NS1_11comp_targetILNS1_3genE9ELNS1_11target_archE1100ELNS1_3gpuE3ELNS1_3repE0EEENS1_30default_config_static_selectorELNS0_4arch9wavefront6targetE0EEEvT1_,@function
_ZN7rocprim17ROCPRIM_400000_NS6detail17trampoline_kernelINS0_14default_configENS1_25partition_config_selectorILNS1_17partition_subalgoE5EiNS0_10empty_typeEbEEZZNS1_14partition_implILS5_5ELb0ES3_mN6thrust23THRUST_200600_302600_NS17counting_iteratorIiNSA_11use_defaultESC_SC_EEPS6_NSA_18transform_iteratorINSA_8identityIiEENSA_6detail15normal_iteratorINSA_10device_ptrIiEEEESC_SC_EENS0_5tupleIJSM_S6_EEENSO_IJSE_SE_EEES6_PlJS6_EEE10hipError_tPvRmT3_T4_T5_T6_T7_T9_mT8_P12ihipStream_tbDpT10_ENKUlT_T0_E_clISt17integral_constantIbLb1EES1A_IbLb0EEEEDaS16_S17_EUlS16_E_NS1_11comp_targetILNS1_3genE9ELNS1_11target_archE1100ELNS1_3gpuE3ELNS1_3repE0EEENS1_30default_config_static_selectorELNS0_4arch9wavefront6targetE0EEEvT1_: ; @_ZN7rocprim17ROCPRIM_400000_NS6detail17trampoline_kernelINS0_14default_configENS1_25partition_config_selectorILNS1_17partition_subalgoE5EiNS0_10empty_typeEbEEZZNS1_14partition_implILS5_5ELb0ES3_mN6thrust23THRUST_200600_302600_NS17counting_iteratorIiNSA_11use_defaultESC_SC_EEPS6_NSA_18transform_iteratorINSA_8identityIiEENSA_6detail15normal_iteratorINSA_10device_ptrIiEEEESC_SC_EENS0_5tupleIJSM_S6_EEENSO_IJSE_SE_EEES6_PlJS6_EEE10hipError_tPvRmT3_T4_T5_T6_T7_T9_mT8_P12ihipStream_tbDpT10_ENKUlT_T0_E_clISt17integral_constantIbLb1EES1A_IbLb0EEEEDaS16_S17_EUlS16_E_NS1_11comp_targetILNS1_3genE9ELNS1_11target_archE1100ELNS1_3gpuE3ELNS1_3repE0EEENS1_30default_config_static_selectorELNS0_4arch9wavefront6targetE0EEEvT1_
; %bb.0:
	.section	.rodata,"a",@progbits
	.p2align	6, 0x0
	.amdhsa_kernel _ZN7rocprim17ROCPRIM_400000_NS6detail17trampoline_kernelINS0_14default_configENS1_25partition_config_selectorILNS1_17partition_subalgoE5EiNS0_10empty_typeEbEEZZNS1_14partition_implILS5_5ELb0ES3_mN6thrust23THRUST_200600_302600_NS17counting_iteratorIiNSA_11use_defaultESC_SC_EEPS6_NSA_18transform_iteratorINSA_8identityIiEENSA_6detail15normal_iteratorINSA_10device_ptrIiEEEESC_SC_EENS0_5tupleIJSM_S6_EEENSO_IJSE_SE_EEES6_PlJS6_EEE10hipError_tPvRmT3_T4_T5_T6_T7_T9_mT8_P12ihipStream_tbDpT10_ENKUlT_T0_E_clISt17integral_constantIbLb1EES1A_IbLb0EEEEDaS16_S17_EUlS16_E_NS1_11comp_targetILNS1_3genE9ELNS1_11target_archE1100ELNS1_3gpuE3ELNS1_3repE0EEENS1_30default_config_static_selectorELNS0_4arch9wavefront6targetE0EEEvT1_
		.amdhsa_group_segment_fixed_size 0
		.amdhsa_private_segment_fixed_size 0
		.amdhsa_kernarg_size 120
		.amdhsa_user_sgpr_count 2
		.amdhsa_user_sgpr_dispatch_ptr 0
		.amdhsa_user_sgpr_queue_ptr 0
		.amdhsa_user_sgpr_kernarg_segment_ptr 1
		.amdhsa_user_sgpr_dispatch_id 0
		.amdhsa_user_sgpr_private_segment_size 0
		.amdhsa_wavefront_size32 1
		.amdhsa_uses_dynamic_stack 0
		.amdhsa_enable_private_segment 0
		.amdhsa_system_sgpr_workgroup_id_x 1
		.amdhsa_system_sgpr_workgroup_id_y 0
		.amdhsa_system_sgpr_workgroup_id_z 0
		.amdhsa_system_sgpr_workgroup_info 0
		.amdhsa_system_vgpr_workitem_id 0
		.amdhsa_next_free_vgpr 1
		.amdhsa_next_free_sgpr 1
		.amdhsa_reserve_vcc 0
		.amdhsa_float_round_mode_32 0
		.amdhsa_float_round_mode_16_64 0
		.amdhsa_float_denorm_mode_32 3
		.amdhsa_float_denorm_mode_16_64 3
		.amdhsa_fp16_overflow 0
		.amdhsa_workgroup_processor_mode 1
		.amdhsa_memory_ordered 1
		.amdhsa_forward_progress 1
		.amdhsa_inst_pref_size 0
		.amdhsa_round_robin_scheduling 0
		.amdhsa_exception_fp_ieee_invalid_op 0
		.amdhsa_exception_fp_denorm_src 0
		.amdhsa_exception_fp_ieee_div_zero 0
		.amdhsa_exception_fp_ieee_overflow 0
		.amdhsa_exception_fp_ieee_underflow 0
		.amdhsa_exception_fp_ieee_inexact 0
		.amdhsa_exception_int_div_zero 0
	.end_amdhsa_kernel
	.section	.text._ZN7rocprim17ROCPRIM_400000_NS6detail17trampoline_kernelINS0_14default_configENS1_25partition_config_selectorILNS1_17partition_subalgoE5EiNS0_10empty_typeEbEEZZNS1_14partition_implILS5_5ELb0ES3_mN6thrust23THRUST_200600_302600_NS17counting_iteratorIiNSA_11use_defaultESC_SC_EEPS6_NSA_18transform_iteratorINSA_8identityIiEENSA_6detail15normal_iteratorINSA_10device_ptrIiEEEESC_SC_EENS0_5tupleIJSM_S6_EEENSO_IJSE_SE_EEES6_PlJS6_EEE10hipError_tPvRmT3_T4_T5_T6_T7_T9_mT8_P12ihipStream_tbDpT10_ENKUlT_T0_E_clISt17integral_constantIbLb1EES1A_IbLb0EEEEDaS16_S17_EUlS16_E_NS1_11comp_targetILNS1_3genE9ELNS1_11target_archE1100ELNS1_3gpuE3ELNS1_3repE0EEENS1_30default_config_static_selectorELNS0_4arch9wavefront6targetE0EEEvT1_,"axG",@progbits,_ZN7rocprim17ROCPRIM_400000_NS6detail17trampoline_kernelINS0_14default_configENS1_25partition_config_selectorILNS1_17partition_subalgoE5EiNS0_10empty_typeEbEEZZNS1_14partition_implILS5_5ELb0ES3_mN6thrust23THRUST_200600_302600_NS17counting_iteratorIiNSA_11use_defaultESC_SC_EEPS6_NSA_18transform_iteratorINSA_8identityIiEENSA_6detail15normal_iteratorINSA_10device_ptrIiEEEESC_SC_EENS0_5tupleIJSM_S6_EEENSO_IJSE_SE_EEES6_PlJS6_EEE10hipError_tPvRmT3_T4_T5_T6_T7_T9_mT8_P12ihipStream_tbDpT10_ENKUlT_T0_E_clISt17integral_constantIbLb1EES1A_IbLb0EEEEDaS16_S17_EUlS16_E_NS1_11comp_targetILNS1_3genE9ELNS1_11target_archE1100ELNS1_3gpuE3ELNS1_3repE0EEENS1_30default_config_static_selectorELNS0_4arch9wavefront6targetE0EEEvT1_,comdat
.Lfunc_end34:
	.size	_ZN7rocprim17ROCPRIM_400000_NS6detail17trampoline_kernelINS0_14default_configENS1_25partition_config_selectorILNS1_17partition_subalgoE5EiNS0_10empty_typeEbEEZZNS1_14partition_implILS5_5ELb0ES3_mN6thrust23THRUST_200600_302600_NS17counting_iteratorIiNSA_11use_defaultESC_SC_EEPS6_NSA_18transform_iteratorINSA_8identityIiEENSA_6detail15normal_iteratorINSA_10device_ptrIiEEEESC_SC_EENS0_5tupleIJSM_S6_EEENSO_IJSE_SE_EEES6_PlJS6_EEE10hipError_tPvRmT3_T4_T5_T6_T7_T9_mT8_P12ihipStream_tbDpT10_ENKUlT_T0_E_clISt17integral_constantIbLb1EES1A_IbLb0EEEEDaS16_S17_EUlS16_E_NS1_11comp_targetILNS1_3genE9ELNS1_11target_archE1100ELNS1_3gpuE3ELNS1_3repE0EEENS1_30default_config_static_selectorELNS0_4arch9wavefront6targetE0EEEvT1_, .Lfunc_end34-_ZN7rocprim17ROCPRIM_400000_NS6detail17trampoline_kernelINS0_14default_configENS1_25partition_config_selectorILNS1_17partition_subalgoE5EiNS0_10empty_typeEbEEZZNS1_14partition_implILS5_5ELb0ES3_mN6thrust23THRUST_200600_302600_NS17counting_iteratorIiNSA_11use_defaultESC_SC_EEPS6_NSA_18transform_iteratorINSA_8identityIiEENSA_6detail15normal_iteratorINSA_10device_ptrIiEEEESC_SC_EENS0_5tupleIJSM_S6_EEENSO_IJSE_SE_EEES6_PlJS6_EEE10hipError_tPvRmT3_T4_T5_T6_T7_T9_mT8_P12ihipStream_tbDpT10_ENKUlT_T0_E_clISt17integral_constantIbLb1EES1A_IbLb0EEEEDaS16_S17_EUlS16_E_NS1_11comp_targetILNS1_3genE9ELNS1_11target_archE1100ELNS1_3gpuE3ELNS1_3repE0EEENS1_30default_config_static_selectorELNS0_4arch9wavefront6targetE0EEEvT1_
                                        ; -- End function
	.set _ZN7rocprim17ROCPRIM_400000_NS6detail17trampoline_kernelINS0_14default_configENS1_25partition_config_selectorILNS1_17partition_subalgoE5EiNS0_10empty_typeEbEEZZNS1_14partition_implILS5_5ELb0ES3_mN6thrust23THRUST_200600_302600_NS17counting_iteratorIiNSA_11use_defaultESC_SC_EEPS6_NSA_18transform_iteratorINSA_8identityIiEENSA_6detail15normal_iteratorINSA_10device_ptrIiEEEESC_SC_EENS0_5tupleIJSM_S6_EEENSO_IJSE_SE_EEES6_PlJS6_EEE10hipError_tPvRmT3_T4_T5_T6_T7_T9_mT8_P12ihipStream_tbDpT10_ENKUlT_T0_E_clISt17integral_constantIbLb1EES1A_IbLb0EEEEDaS16_S17_EUlS16_E_NS1_11comp_targetILNS1_3genE9ELNS1_11target_archE1100ELNS1_3gpuE3ELNS1_3repE0EEENS1_30default_config_static_selectorELNS0_4arch9wavefront6targetE0EEEvT1_.num_vgpr, 0
	.set _ZN7rocprim17ROCPRIM_400000_NS6detail17trampoline_kernelINS0_14default_configENS1_25partition_config_selectorILNS1_17partition_subalgoE5EiNS0_10empty_typeEbEEZZNS1_14partition_implILS5_5ELb0ES3_mN6thrust23THRUST_200600_302600_NS17counting_iteratorIiNSA_11use_defaultESC_SC_EEPS6_NSA_18transform_iteratorINSA_8identityIiEENSA_6detail15normal_iteratorINSA_10device_ptrIiEEEESC_SC_EENS0_5tupleIJSM_S6_EEENSO_IJSE_SE_EEES6_PlJS6_EEE10hipError_tPvRmT3_T4_T5_T6_T7_T9_mT8_P12ihipStream_tbDpT10_ENKUlT_T0_E_clISt17integral_constantIbLb1EES1A_IbLb0EEEEDaS16_S17_EUlS16_E_NS1_11comp_targetILNS1_3genE9ELNS1_11target_archE1100ELNS1_3gpuE3ELNS1_3repE0EEENS1_30default_config_static_selectorELNS0_4arch9wavefront6targetE0EEEvT1_.num_agpr, 0
	.set _ZN7rocprim17ROCPRIM_400000_NS6detail17trampoline_kernelINS0_14default_configENS1_25partition_config_selectorILNS1_17partition_subalgoE5EiNS0_10empty_typeEbEEZZNS1_14partition_implILS5_5ELb0ES3_mN6thrust23THRUST_200600_302600_NS17counting_iteratorIiNSA_11use_defaultESC_SC_EEPS6_NSA_18transform_iteratorINSA_8identityIiEENSA_6detail15normal_iteratorINSA_10device_ptrIiEEEESC_SC_EENS0_5tupleIJSM_S6_EEENSO_IJSE_SE_EEES6_PlJS6_EEE10hipError_tPvRmT3_T4_T5_T6_T7_T9_mT8_P12ihipStream_tbDpT10_ENKUlT_T0_E_clISt17integral_constantIbLb1EES1A_IbLb0EEEEDaS16_S17_EUlS16_E_NS1_11comp_targetILNS1_3genE9ELNS1_11target_archE1100ELNS1_3gpuE3ELNS1_3repE0EEENS1_30default_config_static_selectorELNS0_4arch9wavefront6targetE0EEEvT1_.numbered_sgpr, 0
	.set _ZN7rocprim17ROCPRIM_400000_NS6detail17trampoline_kernelINS0_14default_configENS1_25partition_config_selectorILNS1_17partition_subalgoE5EiNS0_10empty_typeEbEEZZNS1_14partition_implILS5_5ELb0ES3_mN6thrust23THRUST_200600_302600_NS17counting_iteratorIiNSA_11use_defaultESC_SC_EEPS6_NSA_18transform_iteratorINSA_8identityIiEENSA_6detail15normal_iteratorINSA_10device_ptrIiEEEESC_SC_EENS0_5tupleIJSM_S6_EEENSO_IJSE_SE_EEES6_PlJS6_EEE10hipError_tPvRmT3_T4_T5_T6_T7_T9_mT8_P12ihipStream_tbDpT10_ENKUlT_T0_E_clISt17integral_constantIbLb1EES1A_IbLb0EEEEDaS16_S17_EUlS16_E_NS1_11comp_targetILNS1_3genE9ELNS1_11target_archE1100ELNS1_3gpuE3ELNS1_3repE0EEENS1_30default_config_static_selectorELNS0_4arch9wavefront6targetE0EEEvT1_.num_named_barrier, 0
	.set _ZN7rocprim17ROCPRIM_400000_NS6detail17trampoline_kernelINS0_14default_configENS1_25partition_config_selectorILNS1_17partition_subalgoE5EiNS0_10empty_typeEbEEZZNS1_14partition_implILS5_5ELb0ES3_mN6thrust23THRUST_200600_302600_NS17counting_iteratorIiNSA_11use_defaultESC_SC_EEPS6_NSA_18transform_iteratorINSA_8identityIiEENSA_6detail15normal_iteratorINSA_10device_ptrIiEEEESC_SC_EENS0_5tupleIJSM_S6_EEENSO_IJSE_SE_EEES6_PlJS6_EEE10hipError_tPvRmT3_T4_T5_T6_T7_T9_mT8_P12ihipStream_tbDpT10_ENKUlT_T0_E_clISt17integral_constantIbLb1EES1A_IbLb0EEEEDaS16_S17_EUlS16_E_NS1_11comp_targetILNS1_3genE9ELNS1_11target_archE1100ELNS1_3gpuE3ELNS1_3repE0EEENS1_30default_config_static_selectorELNS0_4arch9wavefront6targetE0EEEvT1_.private_seg_size, 0
	.set _ZN7rocprim17ROCPRIM_400000_NS6detail17trampoline_kernelINS0_14default_configENS1_25partition_config_selectorILNS1_17partition_subalgoE5EiNS0_10empty_typeEbEEZZNS1_14partition_implILS5_5ELb0ES3_mN6thrust23THRUST_200600_302600_NS17counting_iteratorIiNSA_11use_defaultESC_SC_EEPS6_NSA_18transform_iteratorINSA_8identityIiEENSA_6detail15normal_iteratorINSA_10device_ptrIiEEEESC_SC_EENS0_5tupleIJSM_S6_EEENSO_IJSE_SE_EEES6_PlJS6_EEE10hipError_tPvRmT3_T4_T5_T6_T7_T9_mT8_P12ihipStream_tbDpT10_ENKUlT_T0_E_clISt17integral_constantIbLb1EES1A_IbLb0EEEEDaS16_S17_EUlS16_E_NS1_11comp_targetILNS1_3genE9ELNS1_11target_archE1100ELNS1_3gpuE3ELNS1_3repE0EEENS1_30default_config_static_selectorELNS0_4arch9wavefront6targetE0EEEvT1_.uses_vcc, 0
	.set _ZN7rocprim17ROCPRIM_400000_NS6detail17trampoline_kernelINS0_14default_configENS1_25partition_config_selectorILNS1_17partition_subalgoE5EiNS0_10empty_typeEbEEZZNS1_14partition_implILS5_5ELb0ES3_mN6thrust23THRUST_200600_302600_NS17counting_iteratorIiNSA_11use_defaultESC_SC_EEPS6_NSA_18transform_iteratorINSA_8identityIiEENSA_6detail15normal_iteratorINSA_10device_ptrIiEEEESC_SC_EENS0_5tupleIJSM_S6_EEENSO_IJSE_SE_EEES6_PlJS6_EEE10hipError_tPvRmT3_T4_T5_T6_T7_T9_mT8_P12ihipStream_tbDpT10_ENKUlT_T0_E_clISt17integral_constantIbLb1EES1A_IbLb0EEEEDaS16_S17_EUlS16_E_NS1_11comp_targetILNS1_3genE9ELNS1_11target_archE1100ELNS1_3gpuE3ELNS1_3repE0EEENS1_30default_config_static_selectorELNS0_4arch9wavefront6targetE0EEEvT1_.uses_flat_scratch, 0
	.set _ZN7rocprim17ROCPRIM_400000_NS6detail17trampoline_kernelINS0_14default_configENS1_25partition_config_selectorILNS1_17partition_subalgoE5EiNS0_10empty_typeEbEEZZNS1_14partition_implILS5_5ELb0ES3_mN6thrust23THRUST_200600_302600_NS17counting_iteratorIiNSA_11use_defaultESC_SC_EEPS6_NSA_18transform_iteratorINSA_8identityIiEENSA_6detail15normal_iteratorINSA_10device_ptrIiEEEESC_SC_EENS0_5tupleIJSM_S6_EEENSO_IJSE_SE_EEES6_PlJS6_EEE10hipError_tPvRmT3_T4_T5_T6_T7_T9_mT8_P12ihipStream_tbDpT10_ENKUlT_T0_E_clISt17integral_constantIbLb1EES1A_IbLb0EEEEDaS16_S17_EUlS16_E_NS1_11comp_targetILNS1_3genE9ELNS1_11target_archE1100ELNS1_3gpuE3ELNS1_3repE0EEENS1_30default_config_static_selectorELNS0_4arch9wavefront6targetE0EEEvT1_.has_dyn_sized_stack, 0
	.set _ZN7rocprim17ROCPRIM_400000_NS6detail17trampoline_kernelINS0_14default_configENS1_25partition_config_selectorILNS1_17partition_subalgoE5EiNS0_10empty_typeEbEEZZNS1_14partition_implILS5_5ELb0ES3_mN6thrust23THRUST_200600_302600_NS17counting_iteratorIiNSA_11use_defaultESC_SC_EEPS6_NSA_18transform_iteratorINSA_8identityIiEENSA_6detail15normal_iteratorINSA_10device_ptrIiEEEESC_SC_EENS0_5tupleIJSM_S6_EEENSO_IJSE_SE_EEES6_PlJS6_EEE10hipError_tPvRmT3_T4_T5_T6_T7_T9_mT8_P12ihipStream_tbDpT10_ENKUlT_T0_E_clISt17integral_constantIbLb1EES1A_IbLb0EEEEDaS16_S17_EUlS16_E_NS1_11comp_targetILNS1_3genE9ELNS1_11target_archE1100ELNS1_3gpuE3ELNS1_3repE0EEENS1_30default_config_static_selectorELNS0_4arch9wavefront6targetE0EEEvT1_.has_recursion, 0
	.set _ZN7rocprim17ROCPRIM_400000_NS6detail17trampoline_kernelINS0_14default_configENS1_25partition_config_selectorILNS1_17partition_subalgoE5EiNS0_10empty_typeEbEEZZNS1_14partition_implILS5_5ELb0ES3_mN6thrust23THRUST_200600_302600_NS17counting_iteratorIiNSA_11use_defaultESC_SC_EEPS6_NSA_18transform_iteratorINSA_8identityIiEENSA_6detail15normal_iteratorINSA_10device_ptrIiEEEESC_SC_EENS0_5tupleIJSM_S6_EEENSO_IJSE_SE_EEES6_PlJS6_EEE10hipError_tPvRmT3_T4_T5_T6_T7_T9_mT8_P12ihipStream_tbDpT10_ENKUlT_T0_E_clISt17integral_constantIbLb1EES1A_IbLb0EEEEDaS16_S17_EUlS16_E_NS1_11comp_targetILNS1_3genE9ELNS1_11target_archE1100ELNS1_3gpuE3ELNS1_3repE0EEENS1_30default_config_static_selectorELNS0_4arch9wavefront6targetE0EEEvT1_.has_indirect_call, 0
	.section	.AMDGPU.csdata,"",@progbits
; Kernel info:
; codeLenInByte = 0
; TotalNumSgprs: 0
; NumVgprs: 0
; ScratchSize: 0
; MemoryBound: 0
; FloatMode: 240
; IeeeMode: 1
; LDSByteSize: 0 bytes/workgroup (compile time only)
; SGPRBlocks: 0
; VGPRBlocks: 0
; NumSGPRsForWavesPerEU: 1
; NumVGPRsForWavesPerEU: 1
; Occupancy: 16
; WaveLimiterHint : 0
; COMPUTE_PGM_RSRC2:SCRATCH_EN: 0
; COMPUTE_PGM_RSRC2:USER_SGPR: 2
; COMPUTE_PGM_RSRC2:TRAP_HANDLER: 0
; COMPUTE_PGM_RSRC2:TGID_X_EN: 1
; COMPUTE_PGM_RSRC2:TGID_Y_EN: 0
; COMPUTE_PGM_RSRC2:TGID_Z_EN: 0
; COMPUTE_PGM_RSRC2:TIDIG_COMP_CNT: 0
	.section	.text._ZN7rocprim17ROCPRIM_400000_NS6detail17trampoline_kernelINS0_14default_configENS1_25partition_config_selectorILNS1_17partition_subalgoE5EiNS0_10empty_typeEbEEZZNS1_14partition_implILS5_5ELb0ES3_mN6thrust23THRUST_200600_302600_NS17counting_iteratorIiNSA_11use_defaultESC_SC_EEPS6_NSA_18transform_iteratorINSA_8identityIiEENSA_6detail15normal_iteratorINSA_10device_ptrIiEEEESC_SC_EENS0_5tupleIJSM_S6_EEENSO_IJSE_SE_EEES6_PlJS6_EEE10hipError_tPvRmT3_T4_T5_T6_T7_T9_mT8_P12ihipStream_tbDpT10_ENKUlT_T0_E_clISt17integral_constantIbLb1EES1A_IbLb0EEEEDaS16_S17_EUlS16_E_NS1_11comp_targetILNS1_3genE8ELNS1_11target_archE1030ELNS1_3gpuE2ELNS1_3repE0EEENS1_30default_config_static_selectorELNS0_4arch9wavefront6targetE0EEEvT1_,"axG",@progbits,_ZN7rocprim17ROCPRIM_400000_NS6detail17trampoline_kernelINS0_14default_configENS1_25partition_config_selectorILNS1_17partition_subalgoE5EiNS0_10empty_typeEbEEZZNS1_14partition_implILS5_5ELb0ES3_mN6thrust23THRUST_200600_302600_NS17counting_iteratorIiNSA_11use_defaultESC_SC_EEPS6_NSA_18transform_iteratorINSA_8identityIiEENSA_6detail15normal_iteratorINSA_10device_ptrIiEEEESC_SC_EENS0_5tupleIJSM_S6_EEENSO_IJSE_SE_EEES6_PlJS6_EEE10hipError_tPvRmT3_T4_T5_T6_T7_T9_mT8_P12ihipStream_tbDpT10_ENKUlT_T0_E_clISt17integral_constantIbLb1EES1A_IbLb0EEEEDaS16_S17_EUlS16_E_NS1_11comp_targetILNS1_3genE8ELNS1_11target_archE1030ELNS1_3gpuE2ELNS1_3repE0EEENS1_30default_config_static_selectorELNS0_4arch9wavefront6targetE0EEEvT1_,comdat
	.protected	_ZN7rocprim17ROCPRIM_400000_NS6detail17trampoline_kernelINS0_14default_configENS1_25partition_config_selectorILNS1_17partition_subalgoE5EiNS0_10empty_typeEbEEZZNS1_14partition_implILS5_5ELb0ES3_mN6thrust23THRUST_200600_302600_NS17counting_iteratorIiNSA_11use_defaultESC_SC_EEPS6_NSA_18transform_iteratorINSA_8identityIiEENSA_6detail15normal_iteratorINSA_10device_ptrIiEEEESC_SC_EENS0_5tupleIJSM_S6_EEENSO_IJSE_SE_EEES6_PlJS6_EEE10hipError_tPvRmT3_T4_T5_T6_T7_T9_mT8_P12ihipStream_tbDpT10_ENKUlT_T0_E_clISt17integral_constantIbLb1EES1A_IbLb0EEEEDaS16_S17_EUlS16_E_NS1_11comp_targetILNS1_3genE8ELNS1_11target_archE1030ELNS1_3gpuE2ELNS1_3repE0EEENS1_30default_config_static_selectorELNS0_4arch9wavefront6targetE0EEEvT1_ ; -- Begin function _ZN7rocprim17ROCPRIM_400000_NS6detail17trampoline_kernelINS0_14default_configENS1_25partition_config_selectorILNS1_17partition_subalgoE5EiNS0_10empty_typeEbEEZZNS1_14partition_implILS5_5ELb0ES3_mN6thrust23THRUST_200600_302600_NS17counting_iteratorIiNSA_11use_defaultESC_SC_EEPS6_NSA_18transform_iteratorINSA_8identityIiEENSA_6detail15normal_iteratorINSA_10device_ptrIiEEEESC_SC_EENS0_5tupleIJSM_S6_EEENSO_IJSE_SE_EEES6_PlJS6_EEE10hipError_tPvRmT3_T4_T5_T6_T7_T9_mT8_P12ihipStream_tbDpT10_ENKUlT_T0_E_clISt17integral_constantIbLb1EES1A_IbLb0EEEEDaS16_S17_EUlS16_E_NS1_11comp_targetILNS1_3genE8ELNS1_11target_archE1030ELNS1_3gpuE2ELNS1_3repE0EEENS1_30default_config_static_selectorELNS0_4arch9wavefront6targetE0EEEvT1_
	.globl	_ZN7rocprim17ROCPRIM_400000_NS6detail17trampoline_kernelINS0_14default_configENS1_25partition_config_selectorILNS1_17partition_subalgoE5EiNS0_10empty_typeEbEEZZNS1_14partition_implILS5_5ELb0ES3_mN6thrust23THRUST_200600_302600_NS17counting_iteratorIiNSA_11use_defaultESC_SC_EEPS6_NSA_18transform_iteratorINSA_8identityIiEENSA_6detail15normal_iteratorINSA_10device_ptrIiEEEESC_SC_EENS0_5tupleIJSM_S6_EEENSO_IJSE_SE_EEES6_PlJS6_EEE10hipError_tPvRmT3_T4_T5_T6_T7_T9_mT8_P12ihipStream_tbDpT10_ENKUlT_T0_E_clISt17integral_constantIbLb1EES1A_IbLb0EEEEDaS16_S17_EUlS16_E_NS1_11comp_targetILNS1_3genE8ELNS1_11target_archE1030ELNS1_3gpuE2ELNS1_3repE0EEENS1_30default_config_static_selectorELNS0_4arch9wavefront6targetE0EEEvT1_
	.p2align	8
	.type	_ZN7rocprim17ROCPRIM_400000_NS6detail17trampoline_kernelINS0_14default_configENS1_25partition_config_selectorILNS1_17partition_subalgoE5EiNS0_10empty_typeEbEEZZNS1_14partition_implILS5_5ELb0ES3_mN6thrust23THRUST_200600_302600_NS17counting_iteratorIiNSA_11use_defaultESC_SC_EEPS6_NSA_18transform_iteratorINSA_8identityIiEENSA_6detail15normal_iteratorINSA_10device_ptrIiEEEESC_SC_EENS0_5tupleIJSM_S6_EEENSO_IJSE_SE_EEES6_PlJS6_EEE10hipError_tPvRmT3_T4_T5_T6_T7_T9_mT8_P12ihipStream_tbDpT10_ENKUlT_T0_E_clISt17integral_constantIbLb1EES1A_IbLb0EEEEDaS16_S17_EUlS16_E_NS1_11comp_targetILNS1_3genE8ELNS1_11target_archE1030ELNS1_3gpuE2ELNS1_3repE0EEENS1_30default_config_static_selectorELNS0_4arch9wavefront6targetE0EEEvT1_,@function
_ZN7rocprim17ROCPRIM_400000_NS6detail17trampoline_kernelINS0_14default_configENS1_25partition_config_selectorILNS1_17partition_subalgoE5EiNS0_10empty_typeEbEEZZNS1_14partition_implILS5_5ELb0ES3_mN6thrust23THRUST_200600_302600_NS17counting_iteratorIiNSA_11use_defaultESC_SC_EEPS6_NSA_18transform_iteratorINSA_8identityIiEENSA_6detail15normal_iteratorINSA_10device_ptrIiEEEESC_SC_EENS0_5tupleIJSM_S6_EEENSO_IJSE_SE_EEES6_PlJS6_EEE10hipError_tPvRmT3_T4_T5_T6_T7_T9_mT8_P12ihipStream_tbDpT10_ENKUlT_T0_E_clISt17integral_constantIbLb1EES1A_IbLb0EEEEDaS16_S17_EUlS16_E_NS1_11comp_targetILNS1_3genE8ELNS1_11target_archE1030ELNS1_3gpuE2ELNS1_3repE0EEENS1_30default_config_static_selectorELNS0_4arch9wavefront6targetE0EEEvT1_: ; @_ZN7rocprim17ROCPRIM_400000_NS6detail17trampoline_kernelINS0_14default_configENS1_25partition_config_selectorILNS1_17partition_subalgoE5EiNS0_10empty_typeEbEEZZNS1_14partition_implILS5_5ELb0ES3_mN6thrust23THRUST_200600_302600_NS17counting_iteratorIiNSA_11use_defaultESC_SC_EEPS6_NSA_18transform_iteratorINSA_8identityIiEENSA_6detail15normal_iteratorINSA_10device_ptrIiEEEESC_SC_EENS0_5tupleIJSM_S6_EEENSO_IJSE_SE_EEES6_PlJS6_EEE10hipError_tPvRmT3_T4_T5_T6_T7_T9_mT8_P12ihipStream_tbDpT10_ENKUlT_T0_E_clISt17integral_constantIbLb1EES1A_IbLb0EEEEDaS16_S17_EUlS16_E_NS1_11comp_targetILNS1_3genE8ELNS1_11target_archE1030ELNS1_3gpuE2ELNS1_3repE0EEENS1_30default_config_static_selectorELNS0_4arch9wavefront6targetE0EEEvT1_
; %bb.0:
	.section	.rodata,"a",@progbits
	.p2align	6, 0x0
	.amdhsa_kernel _ZN7rocprim17ROCPRIM_400000_NS6detail17trampoline_kernelINS0_14default_configENS1_25partition_config_selectorILNS1_17partition_subalgoE5EiNS0_10empty_typeEbEEZZNS1_14partition_implILS5_5ELb0ES3_mN6thrust23THRUST_200600_302600_NS17counting_iteratorIiNSA_11use_defaultESC_SC_EEPS6_NSA_18transform_iteratorINSA_8identityIiEENSA_6detail15normal_iteratorINSA_10device_ptrIiEEEESC_SC_EENS0_5tupleIJSM_S6_EEENSO_IJSE_SE_EEES6_PlJS6_EEE10hipError_tPvRmT3_T4_T5_T6_T7_T9_mT8_P12ihipStream_tbDpT10_ENKUlT_T0_E_clISt17integral_constantIbLb1EES1A_IbLb0EEEEDaS16_S17_EUlS16_E_NS1_11comp_targetILNS1_3genE8ELNS1_11target_archE1030ELNS1_3gpuE2ELNS1_3repE0EEENS1_30default_config_static_selectorELNS0_4arch9wavefront6targetE0EEEvT1_
		.amdhsa_group_segment_fixed_size 0
		.amdhsa_private_segment_fixed_size 0
		.amdhsa_kernarg_size 120
		.amdhsa_user_sgpr_count 2
		.amdhsa_user_sgpr_dispatch_ptr 0
		.amdhsa_user_sgpr_queue_ptr 0
		.amdhsa_user_sgpr_kernarg_segment_ptr 1
		.amdhsa_user_sgpr_dispatch_id 0
		.amdhsa_user_sgpr_private_segment_size 0
		.amdhsa_wavefront_size32 1
		.amdhsa_uses_dynamic_stack 0
		.amdhsa_enable_private_segment 0
		.amdhsa_system_sgpr_workgroup_id_x 1
		.amdhsa_system_sgpr_workgroup_id_y 0
		.amdhsa_system_sgpr_workgroup_id_z 0
		.amdhsa_system_sgpr_workgroup_info 0
		.amdhsa_system_vgpr_workitem_id 0
		.amdhsa_next_free_vgpr 1
		.amdhsa_next_free_sgpr 1
		.amdhsa_reserve_vcc 0
		.amdhsa_float_round_mode_32 0
		.amdhsa_float_round_mode_16_64 0
		.amdhsa_float_denorm_mode_32 3
		.amdhsa_float_denorm_mode_16_64 3
		.amdhsa_fp16_overflow 0
		.amdhsa_workgroup_processor_mode 1
		.amdhsa_memory_ordered 1
		.amdhsa_forward_progress 1
		.amdhsa_inst_pref_size 0
		.amdhsa_round_robin_scheduling 0
		.amdhsa_exception_fp_ieee_invalid_op 0
		.amdhsa_exception_fp_denorm_src 0
		.amdhsa_exception_fp_ieee_div_zero 0
		.amdhsa_exception_fp_ieee_overflow 0
		.amdhsa_exception_fp_ieee_underflow 0
		.amdhsa_exception_fp_ieee_inexact 0
		.amdhsa_exception_int_div_zero 0
	.end_amdhsa_kernel
	.section	.text._ZN7rocprim17ROCPRIM_400000_NS6detail17trampoline_kernelINS0_14default_configENS1_25partition_config_selectorILNS1_17partition_subalgoE5EiNS0_10empty_typeEbEEZZNS1_14partition_implILS5_5ELb0ES3_mN6thrust23THRUST_200600_302600_NS17counting_iteratorIiNSA_11use_defaultESC_SC_EEPS6_NSA_18transform_iteratorINSA_8identityIiEENSA_6detail15normal_iteratorINSA_10device_ptrIiEEEESC_SC_EENS0_5tupleIJSM_S6_EEENSO_IJSE_SE_EEES6_PlJS6_EEE10hipError_tPvRmT3_T4_T5_T6_T7_T9_mT8_P12ihipStream_tbDpT10_ENKUlT_T0_E_clISt17integral_constantIbLb1EES1A_IbLb0EEEEDaS16_S17_EUlS16_E_NS1_11comp_targetILNS1_3genE8ELNS1_11target_archE1030ELNS1_3gpuE2ELNS1_3repE0EEENS1_30default_config_static_selectorELNS0_4arch9wavefront6targetE0EEEvT1_,"axG",@progbits,_ZN7rocprim17ROCPRIM_400000_NS6detail17trampoline_kernelINS0_14default_configENS1_25partition_config_selectorILNS1_17partition_subalgoE5EiNS0_10empty_typeEbEEZZNS1_14partition_implILS5_5ELb0ES3_mN6thrust23THRUST_200600_302600_NS17counting_iteratorIiNSA_11use_defaultESC_SC_EEPS6_NSA_18transform_iteratorINSA_8identityIiEENSA_6detail15normal_iteratorINSA_10device_ptrIiEEEESC_SC_EENS0_5tupleIJSM_S6_EEENSO_IJSE_SE_EEES6_PlJS6_EEE10hipError_tPvRmT3_T4_T5_T6_T7_T9_mT8_P12ihipStream_tbDpT10_ENKUlT_T0_E_clISt17integral_constantIbLb1EES1A_IbLb0EEEEDaS16_S17_EUlS16_E_NS1_11comp_targetILNS1_3genE8ELNS1_11target_archE1030ELNS1_3gpuE2ELNS1_3repE0EEENS1_30default_config_static_selectorELNS0_4arch9wavefront6targetE0EEEvT1_,comdat
.Lfunc_end35:
	.size	_ZN7rocprim17ROCPRIM_400000_NS6detail17trampoline_kernelINS0_14default_configENS1_25partition_config_selectorILNS1_17partition_subalgoE5EiNS0_10empty_typeEbEEZZNS1_14partition_implILS5_5ELb0ES3_mN6thrust23THRUST_200600_302600_NS17counting_iteratorIiNSA_11use_defaultESC_SC_EEPS6_NSA_18transform_iteratorINSA_8identityIiEENSA_6detail15normal_iteratorINSA_10device_ptrIiEEEESC_SC_EENS0_5tupleIJSM_S6_EEENSO_IJSE_SE_EEES6_PlJS6_EEE10hipError_tPvRmT3_T4_T5_T6_T7_T9_mT8_P12ihipStream_tbDpT10_ENKUlT_T0_E_clISt17integral_constantIbLb1EES1A_IbLb0EEEEDaS16_S17_EUlS16_E_NS1_11comp_targetILNS1_3genE8ELNS1_11target_archE1030ELNS1_3gpuE2ELNS1_3repE0EEENS1_30default_config_static_selectorELNS0_4arch9wavefront6targetE0EEEvT1_, .Lfunc_end35-_ZN7rocprim17ROCPRIM_400000_NS6detail17trampoline_kernelINS0_14default_configENS1_25partition_config_selectorILNS1_17partition_subalgoE5EiNS0_10empty_typeEbEEZZNS1_14partition_implILS5_5ELb0ES3_mN6thrust23THRUST_200600_302600_NS17counting_iteratorIiNSA_11use_defaultESC_SC_EEPS6_NSA_18transform_iteratorINSA_8identityIiEENSA_6detail15normal_iteratorINSA_10device_ptrIiEEEESC_SC_EENS0_5tupleIJSM_S6_EEENSO_IJSE_SE_EEES6_PlJS6_EEE10hipError_tPvRmT3_T4_T5_T6_T7_T9_mT8_P12ihipStream_tbDpT10_ENKUlT_T0_E_clISt17integral_constantIbLb1EES1A_IbLb0EEEEDaS16_S17_EUlS16_E_NS1_11comp_targetILNS1_3genE8ELNS1_11target_archE1030ELNS1_3gpuE2ELNS1_3repE0EEENS1_30default_config_static_selectorELNS0_4arch9wavefront6targetE0EEEvT1_
                                        ; -- End function
	.set _ZN7rocprim17ROCPRIM_400000_NS6detail17trampoline_kernelINS0_14default_configENS1_25partition_config_selectorILNS1_17partition_subalgoE5EiNS0_10empty_typeEbEEZZNS1_14partition_implILS5_5ELb0ES3_mN6thrust23THRUST_200600_302600_NS17counting_iteratorIiNSA_11use_defaultESC_SC_EEPS6_NSA_18transform_iteratorINSA_8identityIiEENSA_6detail15normal_iteratorINSA_10device_ptrIiEEEESC_SC_EENS0_5tupleIJSM_S6_EEENSO_IJSE_SE_EEES6_PlJS6_EEE10hipError_tPvRmT3_T4_T5_T6_T7_T9_mT8_P12ihipStream_tbDpT10_ENKUlT_T0_E_clISt17integral_constantIbLb1EES1A_IbLb0EEEEDaS16_S17_EUlS16_E_NS1_11comp_targetILNS1_3genE8ELNS1_11target_archE1030ELNS1_3gpuE2ELNS1_3repE0EEENS1_30default_config_static_selectorELNS0_4arch9wavefront6targetE0EEEvT1_.num_vgpr, 0
	.set _ZN7rocprim17ROCPRIM_400000_NS6detail17trampoline_kernelINS0_14default_configENS1_25partition_config_selectorILNS1_17partition_subalgoE5EiNS0_10empty_typeEbEEZZNS1_14partition_implILS5_5ELb0ES3_mN6thrust23THRUST_200600_302600_NS17counting_iteratorIiNSA_11use_defaultESC_SC_EEPS6_NSA_18transform_iteratorINSA_8identityIiEENSA_6detail15normal_iteratorINSA_10device_ptrIiEEEESC_SC_EENS0_5tupleIJSM_S6_EEENSO_IJSE_SE_EEES6_PlJS6_EEE10hipError_tPvRmT3_T4_T5_T6_T7_T9_mT8_P12ihipStream_tbDpT10_ENKUlT_T0_E_clISt17integral_constantIbLb1EES1A_IbLb0EEEEDaS16_S17_EUlS16_E_NS1_11comp_targetILNS1_3genE8ELNS1_11target_archE1030ELNS1_3gpuE2ELNS1_3repE0EEENS1_30default_config_static_selectorELNS0_4arch9wavefront6targetE0EEEvT1_.num_agpr, 0
	.set _ZN7rocprim17ROCPRIM_400000_NS6detail17trampoline_kernelINS0_14default_configENS1_25partition_config_selectorILNS1_17partition_subalgoE5EiNS0_10empty_typeEbEEZZNS1_14partition_implILS5_5ELb0ES3_mN6thrust23THRUST_200600_302600_NS17counting_iteratorIiNSA_11use_defaultESC_SC_EEPS6_NSA_18transform_iteratorINSA_8identityIiEENSA_6detail15normal_iteratorINSA_10device_ptrIiEEEESC_SC_EENS0_5tupleIJSM_S6_EEENSO_IJSE_SE_EEES6_PlJS6_EEE10hipError_tPvRmT3_T4_T5_T6_T7_T9_mT8_P12ihipStream_tbDpT10_ENKUlT_T0_E_clISt17integral_constantIbLb1EES1A_IbLb0EEEEDaS16_S17_EUlS16_E_NS1_11comp_targetILNS1_3genE8ELNS1_11target_archE1030ELNS1_3gpuE2ELNS1_3repE0EEENS1_30default_config_static_selectorELNS0_4arch9wavefront6targetE0EEEvT1_.numbered_sgpr, 0
	.set _ZN7rocprim17ROCPRIM_400000_NS6detail17trampoline_kernelINS0_14default_configENS1_25partition_config_selectorILNS1_17partition_subalgoE5EiNS0_10empty_typeEbEEZZNS1_14partition_implILS5_5ELb0ES3_mN6thrust23THRUST_200600_302600_NS17counting_iteratorIiNSA_11use_defaultESC_SC_EEPS6_NSA_18transform_iteratorINSA_8identityIiEENSA_6detail15normal_iteratorINSA_10device_ptrIiEEEESC_SC_EENS0_5tupleIJSM_S6_EEENSO_IJSE_SE_EEES6_PlJS6_EEE10hipError_tPvRmT3_T4_T5_T6_T7_T9_mT8_P12ihipStream_tbDpT10_ENKUlT_T0_E_clISt17integral_constantIbLb1EES1A_IbLb0EEEEDaS16_S17_EUlS16_E_NS1_11comp_targetILNS1_3genE8ELNS1_11target_archE1030ELNS1_3gpuE2ELNS1_3repE0EEENS1_30default_config_static_selectorELNS0_4arch9wavefront6targetE0EEEvT1_.num_named_barrier, 0
	.set _ZN7rocprim17ROCPRIM_400000_NS6detail17trampoline_kernelINS0_14default_configENS1_25partition_config_selectorILNS1_17partition_subalgoE5EiNS0_10empty_typeEbEEZZNS1_14partition_implILS5_5ELb0ES3_mN6thrust23THRUST_200600_302600_NS17counting_iteratorIiNSA_11use_defaultESC_SC_EEPS6_NSA_18transform_iteratorINSA_8identityIiEENSA_6detail15normal_iteratorINSA_10device_ptrIiEEEESC_SC_EENS0_5tupleIJSM_S6_EEENSO_IJSE_SE_EEES6_PlJS6_EEE10hipError_tPvRmT3_T4_T5_T6_T7_T9_mT8_P12ihipStream_tbDpT10_ENKUlT_T0_E_clISt17integral_constantIbLb1EES1A_IbLb0EEEEDaS16_S17_EUlS16_E_NS1_11comp_targetILNS1_3genE8ELNS1_11target_archE1030ELNS1_3gpuE2ELNS1_3repE0EEENS1_30default_config_static_selectorELNS0_4arch9wavefront6targetE0EEEvT1_.private_seg_size, 0
	.set _ZN7rocprim17ROCPRIM_400000_NS6detail17trampoline_kernelINS0_14default_configENS1_25partition_config_selectorILNS1_17partition_subalgoE5EiNS0_10empty_typeEbEEZZNS1_14partition_implILS5_5ELb0ES3_mN6thrust23THRUST_200600_302600_NS17counting_iteratorIiNSA_11use_defaultESC_SC_EEPS6_NSA_18transform_iteratorINSA_8identityIiEENSA_6detail15normal_iteratorINSA_10device_ptrIiEEEESC_SC_EENS0_5tupleIJSM_S6_EEENSO_IJSE_SE_EEES6_PlJS6_EEE10hipError_tPvRmT3_T4_T5_T6_T7_T9_mT8_P12ihipStream_tbDpT10_ENKUlT_T0_E_clISt17integral_constantIbLb1EES1A_IbLb0EEEEDaS16_S17_EUlS16_E_NS1_11comp_targetILNS1_3genE8ELNS1_11target_archE1030ELNS1_3gpuE2ELNS1_3repE0EEENS1_30default_config_static_selectorELNS0_4arch9wavefront6targetE0EEEvT1_.uses_vcc, 0
	.set _ZN7rocprim17ROCPRIM_400000_NS6detail17trampoline_kernelINS0_14default_configENS1_25partition_config_selectorILNS1_17partition_subalgoE5EiNS0_10empty_typeEbEEZZNS1_14partition_implILS5_5ELb0ES3_mN6thrust23THRUST_200600_302600_NS17counting_iteratorIiNSA_11use_defaultESC_SC_EEPS6_NSA_18transform_iteratorINSA_8identityIiEENSA_6detail15normal_iteratorINSA_10device_ptrIiEEEESC_SC_EENS0_5tupleIJSM_S6_EEENSO_IJSE_SE_EEES6_PlJS6_EEE10hipError_tPvRmT3_T4_T5_T6_T7_T9_mT8_P12ihipStream_tbDpT10_ENKUlT_T0_E_clISt17integral_constantIbLb1EES1A_IbLb0EEEEDaS16_S17_EUlS16_E_NS1_11comp_targetILNS1_3genE8ELNS1_11target_archE1030ELNS1_3gpuE2ELNS1_3repE0EEENS1_30default_config_static_selectorELNS0_4arch9wavefront6targetE0EEEvT1_.uses_flat_scratch, 0
	.set _ZN7rocprim17ROCPRIM_400000_NS6detail17trampoline_kernelINS0_14default_configENS1_25partition_config_selectorILNS1_17partition_subalgoE5EiNS0_10empty_typeEbEEZZNS1_14partition_implILS5_5ELb0ES3_mN6thrust23THRUST_200600_302600_NS17counting_iteratorIiNSA_11use_defaultESC_SC_EEPS6_NSA_18transform_iteratorINSA_8identityIiEENSA_6detail15normal_iteratorINSA_10device_ptrIiEEEESC_SC_EENS0_5tupleIJSM_S6_EEENSO_IJSE_SE_EEES6_PlJS6_EEE10hipError_tPvRmT3_T4_T5_T6_T7_T9_mT8_P12ihipStream_tbDpT10_ENKUlT_T0_E_clISt17integral_constantIbLb1EES1A_IbLb0EEEEDaS16_S17_EUlS16_E_NS1_11comp_targetILNS1_3genE8ELNS1_11target_archE1030ELNS1_3gpuE2ELNS1_3repE0EEENS1_30default_config_static_selectorELNS0_4arch9wavefront6targetE0EEEvT1_.has_dyn_sized_stack, 0
	.set _ZN7rocprim17ROCPRIM_400000_NS6detail17trampoline_kernelINS0_14default_configENS1_25partition_config_selectorILNS1_17partition_subalgoE5EiNS0_10empty_typeEbEEZZNS1_14partition_implILS5_5ELb0ES3_mN6thrust23THRUST_200600_302600_NS17counting_iteratorIiNSA_11use_defaultESC_SC_EEPS6_NSA_18transform_iteratorINSA_8identityIiEENSA_6detail15normal_iteratorINSA_10device_ptrIiEEEESC_SC_EENS0_5tupleIJSM_S6_EEENSO_IJSE_SE_EEES6_PlJS6_EEE10hipError_tPvRmT3_T4_T5_T6_T7_T9_mT8_P12ihipStream_tbDpT10_ENKUlT_T0_E_clISt17integral_constantIbLb1EES1A_IbLb0EEEEDaS16_S17_EUlS16_E_NS1_11comp_targetILNS1_3genE8ELNS1_11target_archE1030ELNS1_3gpuE2ELNS1_3repE0EEENS1_30default_config_static_selectorELNS0_4arch9wavefront6targetE0EEEvT1_.has_recursion, 0
	.set _ZN7rocprim17ROCPRIM_400000_NS6detail17trampoline_kernelINS0_14default_configENS1_25partition_config_selectorILNS1_17partition_subalgoE5EiNS0_10empty_typeEbEEZZNS1_14partition_implILS5_5ELb0ES3_mN6thrust23THRUST_200600_302600_NS17counting_iteratorIiNSA_11use_defaultESC_SC_EEPS6_NSA_18transform_iteratorINSA_8identityIiEENSA_6detail15normal_iteratorINSA_10device_ptrIiEEEESC_SC_EENS0_5tupleIJSM_S6_EEENSO_IJSE_SE_EEES6_PlJS6_EEE10hipError_tPvRmT3_T4_T5_T6_T7_T9_mT8_P12ihipStream_tbDpT10_ENKUlT_T0_E_clISt17integral_constantIbLb1EES1A_IbLb0EEEEDaS16_S17_EUlS16_E_NS1_11comp_targetILNS1_3genE8ELNS1_11target_archE1030ELNS1_3gpuE2ELNS1_3repE0EEENS1_30default_config_static_selectorELNS0_4arch9wavefront6targetE0EEEvT1_.has_indirect_call, 0
	.section	.AMDGPU.csdata,"",@progbits
; Kernel info:
; codeLenInByte = 0
; TotalNumSgprs: 0
; NumVgprs: 0
; ScratchSize: 0
; MemoryBound: 0
; FloatMode: 240
; IeeeMode: 1
; LDSByteSize: 0 bytes/workgroup (compile time only)
; SGPRBlocks: 0
; VGPRBlocks: 0
; NumSGPRsForWavesPerEU: 1
; NumVGPRsForWavesPerEU: 1
; Occupancy: 16
; WaveLimiterHint : 0
; COMPUTE_PGM_RSRC2:SCRATCH_EN: 0
; COMPUTE_PGM_RSRC2:USER_SGPR: 2
; COMPUTE_PGM_RSRC2:TRAP_HANDLER: 0
; COMPUTE_PGM_RSRC2:TGID_X_EN: 1
; COMPUTE_PGM_RSRC2:TGID_Y_EN: 0
; COMPUTE_PGM_RSRC2:TGID_Z_EN: 0
; COMPUTE_PGM_RSRC2:TIDIG_COMP_CNT: 0
	.section	.text._ZN7rocprim17ROCPRIM_400000_NS6detail31init_lookback_scan_state_kernelINS1_19lookback_scan_stateImLb0ELb1EEENS1_16block_id_wrapperIjLb1EEEEEvT_jT0_jPNS7_10value_typeE,"axG",@progbits,_ZN7rocprim17ROCPRIM_400000_NS6detail31init_lookback_scan_state_kernelINS1_19lookback_scan_stateImLb0ELb1EEENS1_16block_id_wrapperIjLb1EEEEEvT_jT0_jPNS7_10value_typeE,comdat
	.protected	_ZN7rocprim17ROCPRIM_400000_NS6detail31init_lookback_scan_state_kernelINS1_19lookback_scan_stateImLb0ELb1EEENS1_16block_id_wrapperIjLb1EEEEEvT_jT0_jPNS7_10value_typeE ; -- Begin function _ZN7rocprim17ROCPRIM_400000_NS6detail31init_lookback_scan_state_kernelINS1_19lookback_scan_stateImLb0ELb1EEENS1_16block_id_wrapperIjLb1EEEEEvT_jT0_jPNS7_10value_typeE
	.globl	_ZN7rocprim17ROCPRIM_400000_NS6detail31init_lookback_scan_state_kernelINS1_19lookback_scan_stateImLb0ELb1EEENS1_16block_id_wrapperIjLb1EEEEEvT_jT0_jPNS7_10value_typeE
	.p2align	8
	.type	_ZN7rocprim17ROCPRIM_400000_NS6detail31init_lookback_scan_state_kernelINS1_19lookback_scan_stateImLb0ELb1EEENS1_16block_id_wrapperIjLb1EEEEEvT_jT0_jPNS7_10value_typeE,@function
_ZN7rocprim17ROCPRIM_400000_NS6detail31init_lookback_scan_state_kernelINS1_19lookback_scan_stateImLb0ELb1EEENS1_16block_id_wrapperIjLb1EEEEEvT_jT0_jPNS7_10value_typeE: ; @_ZN7rocprim17ROCPRIM_400000_NS6detail31init_lookback_scan_state_kernelINS1_19lookback_scan_stateImLb0ELb1EEENS1_16block_id_wrapperIjLb1EEEEEvT_jT0_jPNS7_10value_typeE
; %bb.0:
	s_clause 0x2
	s_load_b32 s7, s[0:1], 0x34
	s_load_b64 s[2:3], s[0:1], 0x20
	s_load_b96 s[4:6], s[0:1], 0x0
	s_wait_kmcnt 0x0
	s_and_b32 s7, s7, 0xffff
	s_cmp_eq_u64 s[2:3], 0
	v_mad_co_u64_u32 v[0:1], null, ttmp9, s7, v[0:1]
	s_cbranch_scc1 .LBB36_8
; %bb.1:
	s_load_b32 s8, s[0:1], 0x18
	s_mov_b32 s9, 0
	s_wait_kmcnt 0x0
	s_cmp_lt_u32 s8, s6
	s_cselect_b32 s7, s8, 0
	s_wait_alu 0xfffe
	v_cmp_eq_u32_e32 vcc_lo, s7, v0
	s_and_saveexec_b32 s7, vcc_lo
	s_cbranch_execz .LBB36_7
; %bb.2:
	s_add_co_i32 s8, s8, 32
	s_mov_b32 s10, exec_lo
	s_lshl_b64 s[8:9], s[8:9], 4
	v_mov_b32_e32 v5, 0
	s_add_nc_u64 s[8:9], s[4:5], s[8:9]
	s_delay_alu instid0(SALU_CYCLE_1) | instskip(SKIP_2) | instid1(VALU_DEP_1)
	v_dual_mov_b32 v1, s8 :: v_dual_mov_b32 v2, s9
	;;#ASMSTART
	global_load_b128 v[1:4], v[1:2] off scope:SCOPE_DEV	
s_wait_loadcnt 0x0
	;;#ASMEND
	v_and_b32_e32 v4, 0xff, v3
	v_cmpx_eq_u64_e32 0, v[4:5]
	s_cbranch_execz .LBB36_6
; %bb.3:
	v_dual_mov_b32 v6, s8 :: v_dual_mov_b32 v7, s9
	s_mov_b32 s8, 0
.LBB36_4:                               ; =>This Inner Loop Header: Depth=1
	;;#ASMSTART
	global_load_b128 v[1:4], v[6:7] off scope:SCOPE_DEV	
s_wait_loadcnt 0x0
	;;#ASMEND
	v_and_b32_e32 v4, 0xff, v3
	s_delay_alu instid0(VALU_DEP_1)
	v_cmp_ne_u64_e32 vcc_lo, 0, v[4:5]
	s_wait_alu 0xfffe
	s_or_b32 s8, vcc_lo, s8
	s_wait_alu 0xfffe
	s_and_not1_b32 exec_lo, exec_lo, s8
	s_cbranch_execnz .LBB36_4
; %bb.5:
	s_or_b32 exec_lo, exec_lo, s8
.LBB36_6:
	s_delay_alu instid0(SALU_CYCLE_1)
	s_or_b32 exec_lo, exec_lo, s10
	v_mov_b32_e32 v3, 0
	global_store_b64 v3, v[1:2], s[2:3]
.LBB36_7:
	s_wait_alu 0xfffe
	s_or_b32 exec_lo, exec_lo, s7
.LBB36_8:
	s_delay_alu instid0(SALU_CYCLE_1)
	s_mov_b32 s2, exec_lo
	v_cmpx_eq_u32_e32 0, v0
	s_cbranch_execz .LBB36_10
; %bb.9:
	s_load_b64 s[0:1], s[0:1], 0x10
	v_mov_b32_e32 v1, 0
	s_wait_kmcnt 0x0
	global_store_b32 v1, v1, s[0:1]
.LBB36_10:
	s_or_b32 exec_lo, exec_lo, s2
	s_delay_alu instid0(SALU_CYCLE_1)
	s_mov_b32 s0, exec_lo
	v_cmpx_gt_u32_e64 s6, v0
	s_cbranch_execz .LBB36_12
; %bb.11:
	v_dual_mov_b32 v2, 0 :: v_dual_add_nc_u32 v1, 32, v0
	s_delay_alu instid0(VALU_DEP_1) | instskip(SKIP_2) | instid1(VALU_DEP_3)
	v_lshlrev_b64_e32 v[4:5], 4, v[1:2]
	v_mov_b32_e32 v1, v2
	v_mov_b32_e32 v3, v2
	v_add_co_u32 v6, vcc_lo, s4, v4
	s_delay_alu instid0(VALU_DEP_1)
	v_add_co_ci_u32_e64 v7, null, s5, v5, vcc_lo
	v_mov_b32_e32 v4, v2
	global_store_b128 v[6:7], v[1:4], off
.LBB36_12:
	s_wait_alu 0xfffe
	s_or_b32 exec_lo, exec_lo, s0
	s_delay_alu instid0(SALU_CYCLE_1)
	s_mov_b32 s0, exec_lo
	v_cmpx_gt_u32_e32 32, v0
	s_cbranch_execz .LBB36_14
; %bb.13:
	v_dual_mov_b32 v1, 0 :: v_dual_mov_b32 v2, 0xff
	s_delay_alu instid0(VALU_DEP_1) | instskip(SKIP_1) | instid1(VALU_DEP_2)
	v_lshlrev_b64_e32 v[3:4], 4, v[0:1]
	v_mov_b32_e32 v0, v1
	v_add_co_u32 v5, vcc_lo, s4, v3
	s_wait_alu 0xfffd
	s_delay_alu instid0(VALU_DEP_3)
	v_add_co_ci_u32_e64 v6, null, s5, v4, vcc_lo
	v_mov_b32_e32 v3, v1
	global_store_b128 v[5:6], v[0:3], off
.LBB36_14:
	s_endpgm
	.section	.rodata,"a",@progbits
	.p2align	6, 0x0
	.amdhsa_kernel _ZN7rocprim17ROCPRIM_400000_NS6detail31init_lookback_scan_state_kernelINS1_19lookback_scan_stateImLb0ELb1EEENS1_16block_id_wrapperIjLb1EEEEEvT_jT0_jPNS7_10value_typeE
		.amdhsa_group_segment_fixed_size 0
		.amdhsa_private_segment_fixed_size 0
		.amdhsa_kernarg_size 296
		.amdhsa_user_sgpr_count 2
		.amdhsa_user_sgpr_dispatch_ptr 0
		.amdhsa_user_sgpr_queue_ptr 0
		.amdhsa_user_sgpr_kernarg_segment_ptr 1
		.amdhsa_user_sgpr_dispatch_id 0
		.amdhsa_user_sgpr_private_segment_size 0
		.amdhsa_wavefront_size32 1
		.amdhsa_uses_dynamic_stack 0
		.amdhsa_enable_private_segment 0
		.amdhsa_system_sgpr_workgroup_id_x 1
		.amdhsa_system_sgpr_workgroup_id_y 0
		.amdhsa_system_sgpr_workgroup_id_z 0
		.amdhsa_system_sgpr_workgroup_info 0
		.amdhsa_system_vgpr_workitem_id 0
		.amdhsa_next_free_vgpr 8
		.amdhsa_next_free_sgpr 11
		.amdhsa_reserve_vcc 1
		.amdhsa_float_round_mode_32 0
		.amdhsa_float_round_mode_16_64 0
		.amdhsa_float_denorm_mode_32 3
		.amdhsa_float_denorm_mode_16_64 3
		.amdhsa_fp16_overflow 0
		.amdhsa_workgroup_processor_mode 1
		.amdhsa_memory_ordered 1
		.amdhsa_forward_progress 1
		.amdhsa_inst_pref_size 4
		.amdhsa_round_robin_scheduling 0
		.amdhsa_exception_fp_ieee_invalid_op 0
		.amdhsa_exception_fp_denorm_src 0
		.amdhsa_exception_fp_ieee_div_zero 0
		.amdhsa_exception_fp_ieee_overflow 0
		.amdhsa_exception_fp_ieee_underflow 0
		.amdhsa_exception_fp_ieee_inexact 0
		.amdhsa_exception_int_div_zero 0
	.end_amdhsa_kernel
	.section	.text._ZN7rocprim17ROCPRIM_400000_NS6detail31init_lookback_scan_state_kernelINS1_19lookback_scan_stateImLb0ELb1EEENS1_16block_id_wrapperIjLb1EEEEEvT_jT0_jPNS7_10value_typeE,"axG",@progbits,_ZN7rocprim17ROCPRIM_400000_NS6detail31init_lookback_scan_state_kernelINS1_19lookback_scan_stateImLb0ELb1EEENS1_16block_id_wrapperIjLb1EEEEEvT_jT0_jPNS7_10value_typeE,comdat
.Lfunc_end36:
	.size	_ZN7rocprim17ROCPRIM_400000_NS6detail31init_lookback_scan_state_kernelINS1_19lookback_scan_stateImLb0ELb1EEENS1_16block_id_wrapperIjLb1EEEEEvT_jT0_jPNS7_10value_typeE, .Lfunc_end36-_ZN7rocprim17ROCPRIM_400000_NS6detail31init_lookback_scan_state_kernelINS1_19lookback_scan_stateImLb0ELb1EEENS1_16block_id_wrapperIjLb1EEEEEvT_jT0_jPNS7_10value_typeE
                                        ; -- End function
	.set _ZN7rocprim17ROCPRIM_400000_NS6detail31init_lookback_scan_state_kernelINS1_19lookback_scan_stateImLb0ELb1EEENS1_16block_id_wrapperIjLb1EEEEEvT_jT0_jPNS7_10value_typeE.num_vgpr, 8
	.set _ZN7rocprim17ROCPRIM_400000_NS6detail31init_lookback_scan_state_kernelINS1_19lookback_scan_stateImLb0ELb1EEENS1_16block_id_wrapperIjLb1EEEEEvT_jT0_jPNS7_10value_typeE.num_agpr, 0
	.set _ZN7rocprim17ROCPRIM_400000_NS6detail31init_lookback_scan_state_kernelINS1_19lookback_scan_stateImLb0ELb1EEENS1_16block_id_wrapperIjLb1EEEEEvT_jT0_jPNS7_10value_typeE.numbered_sgpr, 11
	.set _ZN7rocprim17ROCPRIM_400000_NS6detail31init_lookback_scan_state_kernelINS1_19lookback_scan_stateImLb0ELb1EEENS1_16block_id_wrapperIjLb1EEEEEvT_jT0_jPNS7_10value_typeE.num_named_barrier, 0
	.set _ZN7rocprim17ROCPRIM_400000_NS6detail31init_lookback_scan_state_kernelINS1_19lookback_scan_stateImLb0ELb1EEENS1_16block_id_wrapperIjLb1EEEEEvT_jT0_jPNS7_10value_typeE.private_seg_size, 0
	.set _ZN7rocprim17ROCPRIM_400000_NS6detail31init_lookback_scan_state_kernelINS1_19lookback_scan_stateImLb0ELb1EEENS1_16block_id_wrapperIjLb1EEEEEvT_jT0_jPNS7_10value_typeE.uses_vcc, 1
	.set _ZN7rocprim17ROCPRIM_400000_NS6detail31init_lookback_scan_state_kernelINS1_19lookback_scan_stateImLb0ELb1EEENS1_16block_id_wrapperIjLb1EEEEEvT_jT0_jPNS7_10value_typeE.uses_flat_scratch, 0
	.set _ZN7rocprim17ROCPRIM_400000_NS6detail31init_lookback_scan_state_kernelINS1_19lookback_scan_stateImLb0ELb1EEENS1_16block_id_wrapperIjLb1EEEEEvT_jT0_jPNS7_10value_typeE.has_dyn_sized_stack, 0
	.set _ZN7rocprim17ROCPRIM_400000_NS6detail31init_lookback_scan_state_kernelINS1_19lookback_scan_stateImLb0ELb1EEENS1_16block_id_wrapperIjLb1EEEEEvT_jT0_jPNS7_10value_typeE.has_recursion, 0
	.set _ZN7rocprim17ROCPRIM_400000_NS6detail31init_lookback_scan_state_kernelINS1_19lookback_scan_stateImLb0ELb1EEENS1_16block_id_wrapperIjLb1EEEEEvT_jT0_jPNS7_10value_typeE.has_indirect_call, 0
	.section	.AMDGPU.csdata,"",@progbits
; Kernel info:
; codeLenInByte = 448
; TotalNumSgprs: 13
; NumVgprs: 8
; ScratchSize: 0
; MemoryBound: 0
; FloatMode: 240
; IeeeMode: 1
; LDSByteSize: 0 bytes/workgroup (compile time only)
; SGPRBlocks: 0
; VGPRBlocks: 0
; NumSGPRsForWavesPerEU: 13
; NumVGPRsForWavesPerEU: 8
; Occupancy: 16
; WaveLimiterHint : 0
; COMPUTE_PGM_RSRC2:SCRATCH_EN: 0
; COMPUTE_PGM_RSRC2:USER_SGPR: 2
; COMPUTE_PGM_RSRC2:TRAP_HANDLER: 0
; COMPUTE_PGM_RSRC2:TGID_X_EN: 1
; COMPUTE_PGM_RSRC2:TGID_Y_EN: 0
; COMPUTE_PGM_RSRC2:TGID_Z_EN: 0
; COMPUTE_PGM_RSRC2:TIDIG_COMP_CNT: 0
	.section	.text._ZN7rocprim17ROCPRIM_400000_NS6detail17trampoline_kernelINS0_14default_configENS1_25partition_config_selectorILNS1_17partition_subalgoE5EiNS0_10empty_typeEbEEZZNS1_14partition_implILS5_5ELb0ES3_mN6thrust23THRUST_200600_302600_NS17counting_iteratorIiNSA_11use_defaultESC_SC_EEPS6_NSA_18transform_iteratorINSA_8identityIiEENSA_6detail15normal_iteratorINSA_10device_ptrIiEEEESC_SC_EENS0_5tupleIJSM_S6_EEENSO_IJSE_SE_EEES6_PlJS6_EEE10hipError_tPvRmT3_T4_T5_T6_T7_T9_mT8_P12ihipStream_tbDpT10_ENKUlT_T0_E_clISt17integral_constantIbLb0EES1A_IbLb1EEEEDaS16_S17_EUlS16_E_NS1_11comp_targetILNS1_3genE0ELNS1_11target_archE4294967295ELNS1_3gpuE0ELNS1_3repE0EEENS1_30default_config_static_selectorELNS0_4arch9wavefront6targetE0EEEvT1_,"axG",@progbits,_ZN7rocprim17ROCPRIM_400000_NS6detail17trampoline_kernelINS0_14default_configENS1_25partition_config_selectorILNS1_17partition_subalgoE5EiNS0_10empty_typeEbEEZZNS1_14partition_implILS5_5ELb0ES3_mN6thrust23THRUST_200600_302600_NS17counting_iteratorIiNSA_11use_defaultESC_SC_EEPS6_NSA_18transform_iteratorINSA_8identityIiEENSA_6detail15normal_iteratorINSA_10device_ptrIiEEEESC_SC_EENS0_5tupleIJSM_S6_EEENSO_IJSE_SE_EEES6_PlJS6_EEE10hipError_tPvRmT3_T4_T5_T6_T7_T9_mT8_P12ihipStream_tbDpT10_ENKUlT_T0_E_clISt17integral_constantIbLb0EES1A_IbLb1EEEEDaS16_S17_EUlS16_E_NS1_11comp_targetILNS1_3genE0ELNS1_11target_archE4294967295ELNS1_3gpuE0ELNS1_3repE0EEENS1_30default_config_static_selectorELNS0_4arch9wavefront6targetE0EEEvT1_,comdat
	.protected	_ZN7rocprim17ROCPRIM_400000_NS6detail17trampoline_kernelINS0_14default_configENS1_25partition_config_selectorILNS1_17partition_subalgoE5EiNS0_10empty_typeEbEEZZNS1_14partition_implILS5_5ELb0ES3_mN6thrust23THRUST_200600_302600_NS17counting_iteratorIiNSA_11use_defaultESC_SC_EEPS6_NSA_18transform_iteratorINSA_8identityIiEENSA_6detail15normal_iteratorINSA_10device_ptrIiEEEESC_SC_EENS0_5tupleIJSM_S6_EEENSO_IJSE_SE_EEES6_PlJS6_EEE10hipError_tPvRmT3_T4_T5_T6_T7_T9_mT8_P12ihipStream_tbDpT10_ENKUlT_T0_E_clISt17integral_constantIbLb0EES1A_IbLb1EEEEDaS16_S17_EUlS16_E_NS1_11comp_targetILNS1_3genE0ELNS1_11target_archE4294967295ELNS1_3gpuE0ELNS1_3repE0EEENS1_30default_config_static_selectorELNS0_4arch9wavefront6targetE0EEEvT1_ ; -- Begin function _ZN7rocprim17ROCPRIM_400000_NS6detail17trampoline_kernelINS0_14default_configENS1_25partition_config_selectorILNS1_17partition_subalgoE5EiNS0_10empty_typeEbEEZZNS1_14partition_implILS5_5ELb0ES3_mN6thrust23THRUST_200600_302600_NS17counting_iteratorIiNSA_11use_defaultESC_SC_EEPS6_NSA_18transform_iteratorINSA_8identityIiEENSA_6detail15normal_iteratorINSA_10device_ptrIiEEEESC_SC_EENS0_5tupleIJSM_S6_EEENSO_IJSE_SE_EEES6_PlJS6_EEE10hipError_tPvRmT3_T4_T5_T6_T7_T9_mT8_P12ihipStream_tbDpT10_ENKUlT_T0_E_clISt17integral_constantIbLb0EES1A_IbLb1EEEEDaS16_S17_EUlS16_E_NS1_11comp_targetILNS1_3genE0ELNS1_11target_archE4294967295ELNS1_3gpuE0ELNS1_3repE0EEENS1_30default_config_static_selectorELNS0_4arch9wavefront6targetE0EEEvT1_
	.globl	_ZN7rocprim17ROCPRIM_400000_NS6detail17trampoline_kernelINS0_14default_configENS1_25partition_config_selectorILNS1_17partition_subalgoE5EiNS0_10empty_typeEbEEZZNS1_14partition_implILS5_5ELb0ES3_mN6thrust23THRUST_200600_302600_NS17counting_iteratorIiNSA_11use_defaultESC_SC_EEPS6_NSA_18transform_iteratorINSA_8identityIiEENSA_6detail15normal_iteratorINSA_10device_ptrIiEEEESC_SC_EENS0_5tupleIJSM_S6_EEENSO_IJSE_SE_EEES6_PlJS6_EEE10hipError_tPvRmT3_T4_T5_T6_T7_T9_mT8_P12ihipStream_tbDpT10_ENKUlT_T0_E_clISt17integral_constantIbLb0EES1A_IbLb1EEEEDaS16_S17_EUlS16_E_NS1_11comp_targetILNS1_3genE0ELNS1_11target_archE4294967295ELNS1_3gpuE0ELNS1_3repE0EEENS1_30default_config_static_selectorELNS0_4arch9wavefront6targetE0EEEvT1_
	.p2align	8
	.type	_ZN7rocprim17ROCPRIM_400000_NS6detail17trampoline_kernelINS0_14default_configENS1_25partition_config_selectorILNS1_17partition_subalgoE5EiNS0_10empty_typeEbEEZZNS1_14partition_implILS5_5ELb0ES3_mN6thrust23THRUST_200600_302600_NS17counting_iteratorIiNSA_11use_defaultESC_SC_EEPS6_NSA_18transform_iteratorINSA_8identityIiEENSA_6detail15normal_iteratorINSA_10device_ptrIiEEEESC_SC_EENS0_5tupleIJSM_S6_EEENSO_IJSE_SE_EEES6_PlJS6_EEE10hipError_tPvRmT3_T4_T5_T6_T7_T9_mT8_P12ihipStream_tbDpT10_ENKUlT_T0_E_clISt17integral_constantIbLb0EES1A_IbLb1EEEEDaS16_S17_EUlS16_E_NS1_11comp_targetILNS1_3genE0ELNS1_11target_archE4294967295ELNS1_3gpuE0ELNS1_3repE0EEENS1_30default_config_static_selectorELNS0_4arch9wavefront6targetE0EEEvT1_,@function
_ZN7rocprim17ROCPRIM_400000_NS6detail17trampoline_kernelINS0_14default_configENS1_25partition_config_selectorILNS1_17partition_subalgoE5EiNS0_10empty_typeEbEEZZNS1_14partition_implILS5_5ELb0ES3_mN6thrust23THRUST_200600_302600_NS17counting_iteratorIiNSA_11use_defaultESC_SC_EEPS6_NSA_18transform_iteratorINSA_8identityIiEENSA_6detail15normal_iteratorINSA_10device_ptrIiEEEESC_SC_EENS0_5tupleIJSM_S6_EEENSO_IJSE_SE_EEES6_PlJS6_EEE10hipError_tPvRmT3_T4_T5_T6_T7_T9_mT8_P12ihipStream_tbDpT10_ENKUlT_T0_E_clISt17integral_constantIbLb0EES1A_IbLb1EEEEDaS16_S17_EUlS16_E_NS1_11comp_targetILNS1_3genE0ELNS1_11target_archE4294967295ELNS1_3gpuE0ELNS1_3repE0EEENS1_30default_config_static_selectorELNS0_4arch9wavefront6targetE0EEEvT1_: ; @_ZN7rocprim17ROCPRIM_400000_NS6detail17trampoline_kernelINS0_14default_configENS1_25partition_config_selectorILNS1_17partition_subalgoE5EiNS0_10empty_typeEbEEZZNS1_14partition_implILS5_5ELb0ES3_mN6thrust23THRUST_200600_302600_NS17counting_iteratorIiNSA_11use_defaultESC_SC_EEPS6_NSA_18transform_iteratorINSA_8identityIiEENSA_6detail15normal_iteratorINSA_10device_ptrIiEEEESC_SC_EENS0_5tupleIJSM_S6_EEENSO_IJSE_SE_EEES6_PlJS6_EEE10hipError_tPvRmT3_T4_T5_T6_T7_T9_mT8_P12ihipStream_tbDpT10_ENKUlT_T0_E_clISt17integral_constantIbLb0EES1A_IbLb1EEEEDaS16_S17_EUlS16_E_NS1_11comp_targetILNS1_3genE0ELNS1_11target_archE4294967295ELNS1_3gpuE0ELNS1_3repE0EEENS1_30default_config_static_selectorELNS0_4arch9wavefront6targetE0EEEvT1_
; %bb.0:
	.section	.rodata,"a",@progbits
	.p2align	6, 0x0
	.amdhsa_kernel _ZN7rocprim17ROCPRIM_400000_NS6detail17trampoline_kernelINS0_14default_configENS1_25partition_config_selectorILNS1_17partition_subalgoE5EiNS0_10empty_typeEbEEZZNS1_14partition_implILS5_5ELb0ES3_mN6thrust23THRUST_200600_302600_NS17counting_iteratorIiNSA_11use_defaultESC_SC_EEPS6_NSA_18transform_iteratorINSA_8identityIiEENSA_6detail15normal_iteratorINSA_10device_ptrIiEEEESC_SC_EENS0_5tupleIJSM_S6_EEENSO_IJSE_SE_EEES6_PlJS6_EEE10hipError_tPvRmT3_T4_T5_T6_T7_T9_mT8_P12ihipStream_tbDpT10_ENKUlT_T0_E_clISt17integral_constantIbLb0EES1A_IbLb1EEEEDaS16_S17_EUlS16_E_NS1_11comp_targetILNS1_3genE0ELNS1_11target_archE4294967295ELNS1_3gpuE0ELNS1_3repE0EEENS1_30default_config_static_selectorELNS0_4arch9wavefront6targetE0EEEvT1_
		.amdhsa_group_segment_fixed_size 0
		.amdhsa_private_segment_fixed_size 0
		.amdhsa_kernarg_size 136
		.amdhsa_user_sgpr_count 2
		.amdhsa_user_sgpr_dispatch_ptr 0
		.amdhsa_user_sgpr_queue_ptr 0
		.amdhsa_user_sgpr_kernarg_segment_ptr 1
		.amdhsa_user_sgpr_dispatch_id 0
		.amdhsa_user_sgpr_private_segment_size 0
		.amdhsa_wavefront_size32 1
		.amdhsa_uses_dynamic_stack 0
		.amdhsa_enable_private_segment 0
		.amdhsa_system_sgpr_workgroup_id_x 1
		.amdhsa_system_sgpr_workgroup_id_y 0
		.amdhsa_system_sgpr_workgroup_id_z 0
		.amdhsa_system_sgpr_workgroup_info 0
		.amdhsa_system_vgpr_workitem_id 0
		.amdhsa_next_free_vgpr 1
		.amdhsa_next_free_sgpr 1
		.amdhsa_reserve_vcc 0
		.amdhsa_float_round_mode_32 0
		.amdhsa_float_round_mode_16_64 0
		.amdhsa_float_denorm_mode_32 3
		.amdhsa_float_denorm_mode_16_64 3
		.amdhsa_fp16_overflow 0
		.amdhsa_workgroup_processor_mode 1
		.amdhsa_memory_ordered 1
		.amdhsa_forward_progress 1
		.amdhsa_inst_pref_size 0
		.amdhsa_round_robin_scheduling 0
		.amdhsa_exception_fp_ieee_invalid_op 0
		.amdhsa_exception_fp_denorm_src 0
		.amdhsa_exception_fp_ieee_div_zero 0
		.amdhsa_exception_fp_ieee_overflow 0
		.amdhsa_exception_fp_ieee_underflow 0
		.amdhsa_exception_fp_ieee_inexact 0
		.amdhsa_exception_int_div_zero 0
	.end_amdhsa_kernel
	.section	.text._ZN7rocprim17ROCPRIM_400000_NS6detail17trampoline_kernelINS0_14default_configENS1_25partition_config_selectorILNS1_17partition_subalgoE5EiNS0_10empty_typeEbEEZZNS1_14partition_implILS5_5ELb0ES3_mN6thrust23THRUST_200600_302600_NS17counting_iteratorIiNSA_11use_defaultESC_SC_EEPS6_NSA_18transform_iteratorINSA_8identityIiEENSA_6detail15normal_iteratorINSA_10device_ptrIiEEEESC_SC_EENS0_5tupleIJSM_S6_EEENSO_IJSE_SE_EEES6_PlJS6_EEE10hipError_tPvRmT3_T4_T5_T6_T7_T9_mT8_P12ihipStream_tbDpT10_ENKUlT_T0_E_clISt17integral_constantIbLb0EES1A_IbLb1EEEEDaS16_S17_EUlS16_E_NS1_11comp_targetILNS1_3genE0ELNS1_11target_archE4294967295ELNS1_3gpuE0ELNS1_3repE0EEENS1_30default_config_static_selectorELNS0_4arch9wavefront6targetE0EEEvT1_,"axG",@progbits,_ZN7rocprim17ROCPRIM_400000_NS6detail17trampoline_kernelINS0_14default_configENS1_25partition_config_selectorILNS1_17partition_subalgoE5EiNS0_10empty_typeEbEEZZNS1_14partition_implILS5_5ELb0ES3_mN6thrust23THRUST_200600_302600_NS17counting_iteratorIiNSA_11use_defaultESC_SC_EEPS6_NSA_18transform_iteratorINSA_8identityIiEENSA_6detail15normal_iteratorINSA_10device_ptrIiEEEESC_SC_EENS0_5tupleIJSM_S6_EEENSO_IJSE_SE_EEES6_PlJS6_EEE10hipError_tPvRmT3_T4_T5_T6_T7_T9_mT8_P12ihipStream_tbDpT10_ENKUlT_T0_E_clISt17integral_constantIbLb0EES1A_IbLb1EEEEDaS16_S17_EUlS16_E_NS1_11comp_targetILNS1_3genE0ELNS1_11target_archE4294967295ELNS1_3gpuE0ELNS1_3repE0EEENS1_30default_config_static_selectorELNS0_4arch9wavefront6targetE0EEEvT1_,comdat
.Lfunc_end37:
	.size	_ZN7rocprim17ROCPRIM_400000_NS6detail17trampoline_kernelINS0_14default_configENS1_25partition_config_selectorILNS1_17partition_subalgoE5EiNS0_10empty_typeEbEEZZNS1_14partition_implILS5_5ELb0ES3_mN6thrust23THRUST_200600_302600_NS17counting_iteratorIiNSA_11use_defaultESC_SC_EEPS6_NSA_18transform_iteratorINSA_8identityIiEENSA_6detail15normal_iteratorINSA_10device_ptrIiEEEESC_SC_EENS0_5tupleIJSM_S6_EEENSO_IJSE_SE_EEES6_PlJS6_EEE10hipError_tPvRmT3_T4_T5_T6_T7_T9_mT8_P12ihipStream_tbDpT10_ENKUlT_T0_E_clISt17integral_constantIbLb0EES1A_IbLb1EEEEDaS16_S17_EUlS16_E_NS1_11comp_targetILNS1_3genE0ELNS1_11target_archE4294967295ELNS1_3gpuE0ELNS1_3repE0EEENS1_30default_config_static_selectorELNS0_4arch9wavefront6targetE0EEEvT1_, .Lfunc_end37-_ZN7rocprim17ROCPRIM_400000_NS6detail17trampoline_kernelINS0_14default_configENS1_25partition_config_selectorILNS1_17partition_subalgoE5EiNS0_10empty_typeEbEEZZNS1_14partition_implILS5_5ELb0ES3_mN6thrust23THRUST_200600_302600_NS17counting_iteratorIiNSA_11use_defaultESC_SC_EEPS6_NSA_18transform_iteratorINSA_8identityIiEENSA_6detail15normal_iteratorINSA_10device_ptrIiEEEESC_SC_EENS0_5tupleIJSM_S6_EEENSO_IJSE_SE_EEES6_PlJS6_EEE10hipError_tPvRmT3_T4_T5_T6_T7_T9_mT8_P12ihipStream_tbDpT10_ENKUlT_T0_E_clISt17integral_constantIbLb0EES1A_IbLb1EEEEDaS16_S17_EUlS16_E_NS1_11comp_targetILNS1_3genE0ELNS1_11target_archE4294967295ELNS1_3gpuE0ELNS1_3repE0EEENS1_30default_config_static_selectorELNS0_4arch9wavefront6targetE0EEEvT1_
                                        ; -- End function
	.set _ZN7rocprim17ROCPRIM_400000_NS6detail17trampoline_kernelINS0_14default_configENS1_25partition_config_selectorILNS1_17partition_subalgoE5EiNS0_10empty_typeEbEEZZNS1_14partition_implILS5_5ELb0ES3_mN6thrust23THRUST_200600_302600_NS17counting_iteratorIiNSA_11use_defaultESC_SC_EEPS6_NSA_18transform_iteratorINSA_8identityIiEENSA_6detail15normal_iteratorINSA_10device_ptrIiEEEESC_SC_EENS0_5tupleIJSM_S6_EEENSO_IJSE_SE_EEES6_PlJS6_EEE10hipError_tPvRmT3_T4_T5_T6_T7_T9_mT8_P12ihipStream_tbDpT10_ENKUlT_T0_E_clISt17integral_constantIbLb0EES1A_IbLb1EEEEDaS16_S17_EUlS16_E_NS1_11comp_targetILNS1_3genE0ELNS1_11target_archE4294967295ELNS1_3gpuE0ELNS1_3repE0EEENS1_30default_config_static_selectorELNS0_4arch9wavefront6targetE0EEEvT1_.num_vgpr, 0
	.set _ZN7rocprim17ROCPRIM_400000_NS6detail17trampoline_kernelINS0_14default_configENS1_25partition_config_selectorILNS1_17partition_subalgoE5EiNS0_10empty_typeEbEEZZNS1_14partition_implILS5_5ELb0ES3_mN6thrust23THRUST_200600_302600_NS17counting_iteratorIiNSA_11use_defaultESC_SC_EEPS6_NSA_18transform_iteratorINSA_8identityIiEENSA_6detail15normal_iteratorINSA_10device_ptrIiEEEESC_SC_EENS0_5tupleIJSM_S6_EEENSO_IJSE_SE_EEES6_PlJS6_EEE10hipError_tPvRmT3_T4_T5_T6_T7_T9_mT8_P12ihipStream_tbDpT10_ENKUlT_T0_E_clISt17integral_constantIbLb0EES1A_IbLb1EEEEDaS16_S17_EUlS16_E_NS1_11comp_targetILNS1_3genE0ELNS1_11target_archE4294967295ELNS1_3gpuE0ELNS1_3repE0EEENS1_30default_config_static_selectorELNS0_4arch9wavefront6targetE0EEEvT1_.num_agpr, 0
	.set _ZN7rocprim17ROCPRIM_400000_NS6detail17trampoline_kernelINS0_14default_configENS1_25partition_config_selectorILNS1_17partition_subalgoE5EiNS0_10empty_typeEbEEZZNS1_14partition_implILS5_5ELb0ES3_mN6thrust23THRUST_200600_302600_NS17counting_iteratorIiNSA_11use_defaultESC_SC_EEPS6_NSA_18transform_iteratorINSA_8identityIiEENSA_6detail15normal_iteratorINSA_10device_ptrIiEEEESC_SC_EENS0_5tupleIJSM_S6_EEENSO_IJSE_SE_EEES6_PlJS6_EEE10hipError_tPvRmT3_T4_T5_T6_T7_T9_mT8_P12ihipStream_tbDpT10_ENKUlT_T0_E_clISt17integral_constantIbLb0EES1A_IbLb1EEEEDaS16_S17_EUlS16_E_NS1_11comp_targetILNS1_3genE0ELNS1_11target_archE4294967295ELNS1_3gpuE0ELNS1_3repE0EEENS1_30default_config_static_selectorELNS0_4arch9wavefront6targetE0EEEvT1_.numbered_sgpr, 0
	.set _ZN7rocprim17ROCPRIM_400000_NS6detail17trampoline_kernelINS0_14default_configENS1_25partition_config_selectorILNS1_17partition_subalgoE5EiNS0_10empty_typeEbEEZZNS1_14partition_implILS5_5ELb0ES3_mN6thrust23THRUST_200600_302600_NS17counting_iteratorIiNSA_11use_defaultESC_SC_EEPS6_NSA_18transform_iteratorINSA_8identityIiEENSA_6detail15normal_iteratorINSA_10device_ptrIiEEEESC_SC_EENS0_5tupleIJSM_S6_EEENSO_IJSE_SE_EEES6_PlJS6_EEE10hipError_tPvRmT3_T4_T5_T6_T7_T9_mT8_P12ihipStream_tbDpT10_ENKUlT_T0_E_clISt17integral_constantIbLb0EES1A_IbLb1EEEEDaS16_S17_EUlS16_E_NS1_11comp_targetILNS1_3genE0ELNS1_11target_archE4294967295ELNS1_3gpuE0ELNS1_3repE0EEENS1_30default_config_static_selectorELNS0_4arch9wavefront6targetE0EEEvT1_.num_named_barrier, 0
	.set _ZN7rocprim17ROCPRIM_400000_NS6detail17trampoline_kernelINS0_14default_configENS1_25partition_config_selectorILNS1_17partition_subalgoE5EiNS0_10empty_typeEbEEZZNS1_14partition_implILS5_5ELb0ES3_mN6thrust23THRUST_200600_302600_NS17counting_iteratorIiNSA_11use_defaultESC_SC_EEPS6_NSA_18transform_iteratorINSA_8identityIiEENSA_6detail15normal_iteratorINSA_10device_ptrIiEEEESC_SC_EENS0_5tupleIJSM_S6_EEENSO_IJSE_SE_EEES6_PlJS6_EEE10hipError_tPvRmT3_T4_T5_T6_T7_T9_mT8_P12ihipStream_tbDpT10_ENKUlT_T0_E_clISt17integral_constantIbLb0EES1A_IbLb1EEEEDaS16_S17_EUlS16_E_NS1_11comp_targetILNS1_3genE0ELNS1_11target_archE4294967295ELNS1_3gpuE0ELNS1_3repE0EEENS1_30default_config_static_selectorELNS0_4arch9wavefront6targetE0EEEvT1_.private_seg_size, 0
	.set _ZN7rocprim17ROCPRIM_400000_NS6detail17trampoline_kernelINS0_14default_configENS1_25partition_config_selectorILNS1_17partition_subalgoE5EiNS0_10empty_typeEbEEZZNS1_14partition_implILS5_5ELb0ES3_mN6thrust23THRUST_200600_302600_NS17counting_iteratorIiNSA_11use_defaultESC_SC_EEPS6_NSA_18transform_iteratorINSA_8identityIiEENSA_6detail15normal_iteratorINSA_10device_ptrIiEEEESC_SC_EENS0_5tupleIJSM_S6_EEENSO_IJSE_SE_EEES6_PlJS6_EEE10hipError_tPvRmT3_T4_T5_T6_T7_T9_mT8_P12ihipStream_tbDpT10_ENKUlT_T0_E_clISt17integral_constantIbLb0EES1A_IbLb1EEEEDaS16_S17_EUlS16_E_NS1_11comp_targetILNS1_3genE0ELNS1_11target_archE4294967295ELNS1_3gpuE0ELNS1_3repE0EEENS1_30default_config_static_selectorELNS0_4arch9wavefront6targetE0EEEvT1_.uses_vcc, 0
	.set _ZN7rocprim17ROCPRIM_400000_NS6detail17trampoline_kernelINS0_14default_configENS1_25partition_config_selectorILNS1_17partition_subalgoE5EiNS0_10empty_typeEbEEZZNS1_14partition_implILS5_5ELb0ES3_mN6thrust23THRUST_200600_302600_NS17counting_iteratorIiNSA_11use_defaultESC_SC_EEPS6_NSA_18transform_iteratorINSA_8identityIiEENSA_6detail15normal_iteratorINSA_10device_ptrIiEEEESC_SC_EENS0_5tupleIJSM_S6_EEENSO_IJSE_SE_EEES6_PlJS6_EEE10hipError_tPvRmT3_T4_T5_T6_T7_T9_mT8_P12ihipStream_tbDpT10_ENKUlT_T0_E_clISt17integral_constantIbLb0EES1A_IbLb1EEEEDaS16_S17_EUlS16_E_NS1_11comp_targetILNS1_3genE0ELNS1_11target_archE4294967295ELNS1_3gpuE0ELNS1_3repE0EEENS1_30default_config_static_selectorELNS0_4arch9wavefront6targetE0EEEvT1_.uses_flat_scratch, 0
	.set _ZN7rocprim17ROCPRIM_400000_NS6detail17trampoline_kernelINS0_14default_configENS1_25partition_config_selectorILNS1_17partition_subalgoE5EiNS0_10empty_typeEbEEZZNS1_14partition_implILS5_5ELb0ES3_mN6thrust23THRUST_200600_302600_NS17counting_iteratorIiNSA_11use_defaultESC_SC_EEPS6_NSA_18transform_iteratorINSA_8identityIiEENSA_6detail15normal_iteratorINSA_10device_ptrIiEEEESC_SC_EENS0_5tupleIJSM_S6_EEENSO_IJSE_SE_EEES6_PlJS6_EEE10hipError_tPvRmT3_T4_T5_T6_T7_T9_mT8_P12ihipStream_tbDpT10_ENKUlT_T0_E_clISt17integral_constantIbLb0EES1A_IbLb1EEEEDaS16_S17_EUlS16_E_NS1_11comp_targetILNS1_3genE0ELNS1_11target_archE4294967295ELNS1_3gpuE0ELNS1_3repE0EEENS1_30default_config_static_selectorELNS0_4arch9wavefront6targetE0EEEvT1_.has_dyn_sized_stack, 0
	.set _ZN7rocprim17ROCPRIM_400000_NS6detail17trampoline_kernelINS0_14default_configENS1_25partition_config_selectorILNS1_17partition_subalgoE5EiNS0_10empty_typeEbEEZZNS1_14partition_implILS5_5ELb0ES3_mN6thrust23THRUST_200600_302600_NS17counting_iteratorIiNSA_11use_defaultESC_SC_EEPS6_NSA_18transform_iteratorINSA_8identityIiEENSA_6detail15normal_iteratorINSA_10device_ptrIiEEEESC_SC_EENS0_5tupleIJSM_S6_EEENSO_IJSE_SE_EEES6_PlJS6_EEE10hipError_tPvRmT3_T4_T5_T6_T7_T9_mT8_P12ihipStream_tbDpT10_ENKUlT_T0_E_clISt17integral_constantIbLb0EES1A_IbLb1EEEEDaS16_S17_EUlS16_E_NS1_11comp_targetILNS1_3genE0ELNS1_11target_archE4294967295ELNS1_3gpuE0ELNS1_3repE0EEENS1_30default_config_static_selectorELNS0_4arch9wavefront6targetE0EEEvT1_.has_recursion, 0
	.set _ZN7rocprim17ROCPRIM_400000_NS6detail17trampoline_kernelINS0_14default_configENS1_25partition_config_selectorILNS1_17partition_subalgoE5EiNS0_10empty_typeEbEEZZNS1_14partition_implILS5_5ELb0ES3_mN6thrust23THRUST_200600_302600_NS17counting_iteratorIiNSA_11use_defaultESC_SC_EEPS6_NSA_18transform_iteratorINSA_8identityIiEENSA_6detail15normal_iteratorINSA_10device_ptrIiEEEESC_SC_EENS0_5tupleIJSM_S6_EEENSO_IJSE_SE_EEES6_PlJS6_EEE10hipError_tPvRmT3_T4_T5_T6_T7_T9_mT8_P12ihipStream_tbDpT10_ENKUlT_T0_E_clISt17integral_constantIbLb0EES1A_IbLb1EEEEDaS16_S17_EUlS16_E_NS1_11comp_targetILNS1_3genE0ELNS1_11target_archE4294967295ELNS1_3gpuE0ELNS1_3repE0EEENS1_30default_config_static_selectorELNS0_4arch9wavefront6targetE0EEEvT1_.has_indirect_call, 0
	.section	.AMDGPU.csdata,"",@progbits
; Kernel info:
; codeLenInByte = 0
; TotalNumSgprs: 0
; NumVgprs: 0
; ScratchSize: 0
; MemoryBound: 0
; FloatMode: 240
; IeeeMode: 1
; LDSByteSize: 0 bytes/workgroup (compile time only)
; SGPRBlocks: 0
; VGPRBlocks: 0
; NumSGPRsForWavesPerEU: 1
; NumVGPRsForWavesPerEU: 1
; Occupancy: 16
; WaveLimiterHint : 0
; COMPUTE_PGM_RSRC2:SCRATCH_EN: 0
; COMPUTE_PGM_RSRC2:USER_SGPR: 2
; COMPUTE_PGM_RSRC2:TRAP_HANDLER: 0
; COMPUTE_PGM_RSRC2:TGID_X_EN: 1
; COMPUTE_PGM_RSRC2:TGID_Y_EN: 0
; COMPUTE_PGM_RSRC2:TGID_Z_EN: 0
; COMPUTE_PGM_RSRC2:TIDIG_COMP_CNT: 0
	.section	.text._ZN7rocprim17ROCPRIM_400000_NS6detail17trampoline_kernelINS0_14default_configENS1_25partition_config_selectorILNS1_17partition_subalgoE5EiNS0_10empty_typeEbEEZZNS1_14partition_implILS5_5ELb0ES3_mN6thrust23THRUST_200600_302600_NS17counting_iteratorIiNSA_11use_defaultESC_SC_EEPS6_NSA_18transform_iteratorINSA_8identityIiEENSA_6detail15normal_iteratorINSA_10device_ptrIiEEEESC_SC_EENS0_5tupleIJSM_S6_EEENSO_IJSE_SE_EEES6_PlJS6_EEE10hipError_tPvRmT3_T4_T5_T6_T7_T9_mT8_P12ihipStream_tbDpT10_ENKUlT_T0_E_clISt17integral_constantIbLb0EES1A_IbLb1EEEEDaS16_S17_EUlS16_E_NS1_11comp_targetILNS1_3genE5ELNS1_11target_archE942ELNS1_3gpuE9ELNS1_3repE0EEENS1_30default_config_static_selectorELNS0_4arch9wavefront6targetE0EEEvT1_,"axG",@progbits,_ZN7rocprim17ROCPRIM_400000_NS6detail17trampoline_kernelINS0_14default_configENS1_25partition_config_selectorILNS1_17partition_subalgoE5EiNS0_10empty_typeEbEEZZNS1_14partition_implILS5_5ELb0ES3_mN6thrust23THRUST_200600_302600_NS17counting_iteratorIiNSA_11use_defaultESC_SC_EEPS6_NSA_18transform_iteratorINSA_8identityIiEENSA_6detail15normal_iteratorINSA_10device_ptrIiEEEESC_SC_EENS0_5tupleIJSM_S6_EEENSO_IJSE_SE_EEES6_PlJS6_EEE10hipError_tPvRmT3_T4_T5_T6_T7_T9_mT8_P12ihipStream_tbDpT10_ENKUlT_T0_E_clISt17integral_constantIbLb0EES1A_IbLb1EEEEDaS16_S17_EUlS16_E_NS1_11comp_targetILNS1_3genE5ELNS1_11target_archE942ELNS1_3gpuE9ELNS1_3repE0EEENS1_30default_config_static_selectorELNS0_4arch9wavefront6targetE0EEEvT1_,comdat
	.protected	_ZN7rocprim17ROCPRIM_400000_NS6detail17trampoline_kernelINS0_14default_configENS1_25partition_config_selectorILNS1_17partition_subalgoE5EiNS0_10empty_typeEbEEZZNS1_14partition_implILS5_5ELb0ES3_mN6thrust23THRUST_200600_302600_NS17counting_iteratorIiNSA_11use_defaultESC_SC_EEPS6_NSA_18transform_iteratorINSA_8identityIiEENSA_6detail15normal_iteratorINSA_10device_ptrIiEEEESC_SC_EENS0_5tupleIJSM_S6_EEENSO_IJSE_SE_EEES6_PlJS6_EEE10hipError_tPvRmT3_T4_T5_T6_T7_T9_mT8_P12ihipStream_tbDpT10_ENKUlT_T0_E_clISt17integral_constantIbLb0EES1A_IbLb1EEEEDaS16_S17_EUlS16_E_NS1_11comp_targetILNS1_3genE5ELNS1_11target_archE942ELNS1_3gpuE9ELNS1_3repE0EEENS1_30default_config_static_selectorELNS0_4arch9wavefront6targetE0EEEvT1_ ; -- Begin function _ZN7rocprim17ROCPRIM_400000_NS6detail17trampoline_kernelINS0_14default_configENS1_25partition_config_selectorILNS1_17partition_subalgoE5EiNS0_10empty_typeEbEEZZNS1_14partition_implILS5_5ELb0ES3_mN6thrust23THRUST_200600_302600_NS17counting_iteratorIiNSA_11use_defaultESC_SC_EEPS6_NSA_18transform_iteratorINSA_8identityIiEENSA_6detail15normal_iteratorINSA_10device_ptrIiEEEESC_SC_EENS0_5tupleIJSM_S6_EEENSO_IJSE_SE_EEES6_PlJS6_EEE10hipError_tPvRmT3_T4_T5_T6_T7_T9_mT8_P12ihipStream_tbDpT10_ENKUlT_T0_E_clISt17integral_constantIbLb0EES1A_IbLb1EEEEDaS16_S17_EUlS16_E_NS1_11comp_targetILNS1_3genE5ELNS1_11target_archE942ELNS1_3gpuE9ELNS1_3repE0EEENS1_30default_config_static_selectorELNS0_4arch9wavefront6targetE0EEEvT1_
	.globl	_ZN7rocprim17ROCPRIM_400000_NS6detail17trampoline_kernelINS0_14default_configENS1_25partition_config_selectorILNS1_17partition_subalgoE5EiNS0_10empty_typeEbEEZZNS1_14partition_implILS5_5ELb0ES3_mN6thrust23THRUST_200600_302600_NS17counting_iteratorIiNSA_11use_defaultESC_SC_EEPS6_NSA_18transform_iteratorINSA_8identityIiEENSA_6detail15normal_iteratorINSA_10device_ptrIiEEEESC_SC_EENS0_5tupleIJSM_S6_EEENSO_IJSE_SE_EEES6_PlJS6_EEE10hipError_tPvRmT3_T4_T5_T6_T7_T9_mT8_P12ihipStream_tbDpT10_ENKUlT_T0_E_clISt17integral_constantIbLb0EES1A_IbLb1EEEEDaS16_S17_EUlS16_E_NS1_11comp_targetILNS1_3genE5ELNS1_11target_archE942ELNS1_3gpuE9ELNS1_3repE0EEENS1_30default_config_static_selectorELNS0_4arch9wavefront6targetE0EEEvT1_
	.p2align	8
	.type	_ZN7rocprim17ROCPRIM_400000_NS6detail17trampoline_kernelINS0_14default_configENS1_25partition_config_selectorILNS1_17partition_subalgoE5EiNS0_10empty_typeEbEEZZNS1_14partition_implILS5_5ELb0ES3_mN6thrust23THRUST_200600_302600_NS17counting_iteratorIiNSA_11use_defaultESC_SC_EEPS6_NSA_18transform_iteratorINSA_8identityIiEENSA_6detail15normal_iteratorINSA_10device_ptrIiEEEESC_SC_EENS0_5tupleIJSM_S6_EEENSO_IJSE_SE_EEES6_PlJS6_EEE10hipError_tPvRmT3_T4_T5_T6_T7_T9_mT8_P12ihipStream_tbDpT10_ENKUlT_T0_E_clISt17integral_constantIbLb0EES1A_IbLb1EEEEDaS16_S17_EUlS16_E_NS1_11comp_targetILNS1_3genE5ELNS1_11target_archE942ELNS1_3gpuE9ELNS1_3repE0EEENS1_30default_config_static_selectorELNS0_4arch9wavefront6targetE0EEEvT1_,@function
_ZN7rocprim17ROCPRIM_400000_NS6detail17trampoline_kernelINS0_14default_configENS1_25partition_config_selectorILNS1_17partition_subalgoE5EiNS0_10empty_typeEbEEZZNS1_14partition_implILS5_5ELb0ES3_mN6thrust23THRUST_200600_302600_NS17counting_iteratorIiNSA_11use_defaultESC_SC_EEPS6_NSA_18transform_iteratorINSA_8identityIiEENSA_6detail15normal_iteratorINSA_10device_ptrIiEEEESC_SC_EENS0_5tupleIJSM_S6_EEENSO_IJSE_SE_EEES6_PlJS6_EEE10hipError_tPvRmT3_T4_T5_T6_T7_T9_mT8_P12ihipStream_tbDpT10_ENKUlT_T0_E_clISt17integral_constantIbLb0EES1A_IbLb1EEEEDaS16_S17_EUlS16_E_NS1_11comp_targetILNS1_3genE5ELNS1_11target_archE942ELNS1_3gpuE9ELNS1_3repE0EEENS1_30default_config_static_selectorELNS0_4arch9wavefront6targetE0EEEvT1_: ; @_ZN7rocprim17ROCPRIM_400000_NS6detail17trampoline_kernelINS0_14default_configENS1_25partition_config_selectorILNS1_17partition_subalgoE5EiNS0_10empty_typeEbEEZZNS1_14partition_implILS5_5ELb0ES3_mN6thrust23THRUST_200600_302600_NS17counting_iteratorIiNSA_11use_defaultESC_SC_EEPS6_NSA_18transform_iteratorINSA_8identityIiEENSA_6detail15normal_iteratorINSA_10device_ptrIiEEEESC_SC_EENS0_5tupleIJSM_S6_EEENSO_IJSE_SE_EEES6_PlJS6_EEE10hipError_tPvRmT3_T4_T5_T6_T7_T9_mT8_P12ihipStream_tbDpT10_ENKUlT_T0_E_clISt17integral_constantIbLb0EES1A_IbLb1EEEEDaS16_S17_EUlS16_E_NS1_11comp_targetILNS1_3genE5ELNS1_11target_archE942ELNS1_3gpuE9ELNS1_3repE0EEENS1_30default_config_static_selectorELNS0_4arch9wavefront6targetE0EEEvT1_
; %bb.0:
	.section	.rodata,"a",@progbits
	.p2align	6, 0x0
	.amdhsa_kernel _ZN7rocprim17ROCPRIM_400000_NS6detail17trampoline_kernelINS0_14default_configENS1_25partition_config_selectorILNS1_17partition_subalgoE5EiNS0_10empty_typeEbEEZZNS1_14partition_implILS5_5ELb0ES3_mN6thrust23THRUST_200600_302600_NS17counting_iteratorIiNSA_11use_defaultESC_SC_EEPS6_NSA_18transform_iteratorINSA_8identityIiEENSA_6detail15normal_iteratorINSA_10device_ptrIiEEEESC_SC_EENS0_5tupleIJSM_S6_EEENSO_IJSE_SE_EEES6_PlJS6_EEE10hipError_tPvRmT3_T4_T5_T6_T7_T9_mT8_P12ihipStream_tbDpT10_ENKUlT_T0_E_clISt17integral_constantIbLb0EES1A_IbLb1EEEEDaS16_S17_EUlS16_E_NS1_11comp_targetILNS1_3genE5ELNS1_11target_archE942ELNS1_3gpuE9ELNS1_3repE0EEENS1_30default_config_static_selectorELNS0_4arch9wavefront6targetE0EEEvT1_
		.amdhsa_group_segment_fixed_size 0
		.amdhsa_private_segment_fixed_size 0
		.amdhsa_kernarg_size 136
		.amdhsa_user_sgpr_count 2
		.amdhsa_user_sgpr_dispatch_ptr 0
		.amdhsa_user_sgpr_queue_ptr 0
		.amdhsa_user_sgpr_kernarg_segment_ptr 1
		.amdhsa_user_sgpr_dispatch_id 0
		.amdhsa_user_sgpr_private_segment_size 0
		.amdhsa_wavefront_size32 1
		.amdhsa_uses_dynamic_stack 0
		.amdhsa_enable_private_segment 0
		.amdhsa_system_sgpr_workgroup_id_x 1
		.amdhsa_system_sgpr_workgroup_id_y 0
		.amdhsa_system_sgpr_workgroup_id_z 0
		.amdhsa_system_sgpr_workgroup_info 0
		.amdhsa_system_vgpr_workitem_id 0
		.amdhsa_next_free_vgpr 1
		.amdhsa_next_free_sgpr 1
		.amdhsa_reserve_vcc 0
		.amdhsa_float_round_mode_32 0
		.amdhsa_float_round_mode_16_64 0
		.amdhsa_float_denorm_mode_32 3
		.amdhsa_float_denorm_mode_16_64 3
		.amdhsa_fp16_overflow 0
		.amdhsa_workgroup_processor_mode 1
		.amdhsa_memory_ordered 1
		.amdhsa_forward_progress 1
		.amdhsa_inst_pref_size 0
		.amdhsa_round_robin_scheduling 0
		.amdhsa_exception_fp_ieee_invalid_op 0
		.amdhsa_exception_fp_denorm_src 0
		.amdhsa_exception_fp_ieee_div_zero 0
		.amdhsa_exception_fp_ieee_overflow 0
		.amdhsa_exception_fp_ieee_underflow 0
		.amdhsa_exception_fp_ieee_inexact 0
		.amdhsa_exception_int_div_zero 0
	.end_amdhsa_kernel
	.section	.text._ZN7rocprim17ROCPRIM_400000_NS6detail17trampoline_kernelINS0_14default_configENS1_25partition_config_selectorILNS1_17partition_subalgoE5EiNS0_10empty_typeEbEEZZNS1_14partition_implILS5_5ELb0ES3_mN6thrust23THRUST_200600_302600_NS17counting_iteratorIiNSA_11use_defaultESC_SC_EEPS6_NSA_18transform_iteratorINSA_8identityIiEENSA_6detail15normal_iteratorINSA_10device_ptrIiEEEESC_SC_EENS0_5tupleIJSM_S6_EEENSO_IJSE_SE_EEES6_PlJS6_EEE10hipError_tPvRmT3_T4_T5_T6_T7_T9_mT8_P12ihipStream_tbDpT10_ENKUlT_T0_E_clISt17integral_constantIbLb0EES1A_IbLb1EEEEDaS16_S17_EUlS16_E_NS1_11comp_targetILNS1_3genE5ELNS1_11target_archE942ELNS1_3gpuE9ELNS1_3repE0EEENS1_30default_config_static_selectorELNS0_4arch9wavefront6targetE0EEEvT1_,"axG",@progbits,_ZN7rocprim17ROCPRIM_400000_NS6detail17trampoline_kernelINS0_14default_configENS1_25partition_config_selectorILNS1_17partition_subalgoE5EiNS0_10empty_typeEbEEZZNS1_14partition_implILS5_5ELb0ES3_mN6thrust23THRUST_200600_302600_NS17counting_iteratorIiNSA_11use_defaultESC_SC_EEPS6_NSA_18transform_iteratorINSA_8identityIiEENSA_6detail15normal_iteratorINSA_10device_ptrIiEEEESC_SC_EENS0_5tupleIJSM_S6_EEENSO_IJSE_SE_EEES6_PlJS6_EEE10hipError_tPvRmT3_T4_T5_T6_T7_T9_mT8_P12ihipStream_tbDpT10_ENKUlT_T0_E_clISt17integral_constantIbLb0EES1A_IbLb1EEEEDaS16_S17_EUlS16_E_NS1_11comp_targetILNS1_3genE5ELNS1_11target_archE942ELNS1_3gpuE9ELNS1_3repE0EEENS1_30default_config_static_selectorELNS0_4arch9wavefront6targetE0EEEvT1_,comdat
.Lfunc_end38:
	.size	_ZN7rocprim17ROCPRIM_400000_NS6detail17trampoline_kernelINS0_14default_configENS1_25partition_config_selectorILNS1_17partition_subalgoE5EiNS0_10empty_typeEbEEZZNS1_14partition_implILS5_5ELb0ES3_mN6thrust23THRUST_200600_302600_NS17counting_iteratorIiNSA_11use_defaultESC_SC_EEPS6_NSA_18transform_iteratorINSA_8identityIiEENSA_6detail15normal_iteratorINSA_10device_ptrIiEEEESC_SC_EENS0_5tupleIJSM_S6_EEENSO_IJSE_SE_EEES6_PlJS6_EEE10hipError_tPvRmT3_T4_T5_T6_T7_T9_mT8_P12ihipStream_tbDpT10_ENKUlT_T0_E_clISt17integral_constantIbLb0EES1A_IbLb1EEEEDaS16_S17_EUlS16_E_NS1_11comp_targetILNS1_3genE5ELNS1_11target_archE942ELNS1_3gpuE9ELNS1_3repE0EEENS1_30default_config_static_selectorELNS0_4arch9wavefront6targetE0EEEvT1_, .Lfunc_end38-_ZN7rocprim17ROCPRIM_400000_NS6detail17trampoline_kernelINS0_14default_configENS1_25partition_config_selectorILNS1_17partition_subalgoE5EiNS0_10empty_typeEbEEZZNS1_14partition_implILS5_5ELb0ES3_mN6thrust23THRUST_200600_302600_NS17counting_iteratorIiNSA_11use_defaultESC_SC_EEPS6_NSA_18transform_iteratorINSA_8identityIiEENSA_6detail15normal_iteratorINSA_10device_ptrIiEEEESC_SC_EENS0_5tupleIJSM_S6_EEENSO_IJSE_SE_EEES6_PlJS6_EEE10hipError_tPvRmT3_T4_T5_T6_T7_T9_mT8_P12ihipStream_tbDpT10_ENKUlT_T0_E_clISt17integral_constantIbLb0EES1A_IbLb1EEEEDaS16_S17_EUlS16_E_NS1_11comp_targetILNS1_3genE5ELNS1_11target_archE942ELNS1_3gpuE9ELNS1_3repE0EEENS1_30default_config_static_selectorELNS0_4arch9wavefront6targetE0EEEvT1_
                                        ; -- End function
	.set _ZN7rocprim17ROCPRIM_400000_NS6detail17trampoline_kernelINS0_14default_configENS1_25partition_config_selectorILNS1_17partition_subalgoE5EiNS0_10empty_typeEbEEZZNS1_14partition_implILS5_5ELb0ES3_mN6thrust23THRUST_200600_302600_NS17counting_iteratorIiNSA_11use_defaultESC_SC_EEPS6_NSA_18transform_iteratorINSA_8identityIiEENSA_6detail15normal_iteratorINSA_10device_ptrIiEEEESC_SC_EENS0_5tupleIJSM_S6_EEENSO_IJSE_SE_EEES6_PlJS6_EEE10hipError_tPvRmT3_T4_T5_T6_T7_T9_mT8_P12ihipStream_tbDpT10_ENKUlT_T0_E_clISt17integral_constantIbLb0EES1A_IbLb1EEEEDaS16_S17_EUlS16_E_NS1_11comp_targetILNS1_3genE5ELNS1_11target_archE942ELNS1_3gpuE9ELNS1_3repE0EEENS1_30default_config_static_selectorELNS0_4arch9wavefront6targetE0EEEvT1_.num_vgpr, 0
	.set _ZN7rocprim17ROCPRIM_400000_NS6detail17trampoline_kernelINS0_14default_configENS1_25partition_config_selectorILNS1_17partition_subalgoE5EiNS0_10empty_typeEbEEZZNS1_14partition_implILS5_5ELb0ES3_mN6thrust23THRUST_200600_302600_NS17counting_iteratorIiNSA_11use_defaultESC_SC_EEPS6_NSA_18transform_iteratorINSA_8identityIiEENSA_6detail15normal_iteratorINSA_10device_ptrIiEEEESC_SC_EENS0_5tupleIJSM_S6_EEENSO_IJSE_SE_EEES6_PlJS6_EEE10hipError_tPvRmT3_T4_T5_T6_T7_T9_mT8_P12ihipStream_tbDpT10_ENKUlT_T0_E_clISt17integral_constantIbLb0EES1A_IbLb1EEEEDaS16_S17_EUlS16_E_NS1_11comp_targetILNS1_3genE5ELNS1_11target_archE942ELNS1_3gpuE9ELNS1_3repE0EEENS1_30default_config_static_selectorELNS0_4arch9wavefront6targetE0EEEvT1_.num_agpr, 0
	.set _ZN7rocprim17ROCPRIM_400000_NS6detail17trampoline_kernelINS0_14default_configENS1_25partition_config_selectorILNS1_17partition_subalgoE5EiNS0_10empty_typeEbEEZZNS1_14partition_implILS5_5ELb0ES3_mN6thrust23THRUST_200600_302600_NS17counting_iteratorIiNSA_11use_defaultESC_SC_EEPS6_NSA_18transform_iteratorINSA_8identityIiEENSA_6detail15normal_iteratorINSA_10device_ptrIiEEEESC_SC_EENS0_5tupleIJSM_S6_EEENSO_IJSE_SE_EEES6_PlJS6_EEE10hipError_tPvRmT3_T4_T5_T6_T7_T9_mT8_P12ihipStream_tbDpT10_ENKUlT_T0_E_clISt17integral_constantIbLb0EES1A_IbLb1EEEEDaS16_S17_EUlS16_E_NS1_11comp_targetILNS1_3genE5ELNS1_11target_archE942ELNS1_3gpuE9ELNS1_3repE0EEENS1_30default_config_static_selectorELNS0_4arch9wavefront6targetE0EEEvT1_.numbered_sgpr, 0
	.set _ZN7rocprim17ROCPRIM_400000_NS6detail17trampoline_kernelINS0_14default_configENS1_25partition_config_selectorILNS1_17partition_subalgoE5EiNS0_10empty_typeEbEEZZNS1_14partition_implILS5_5ELb0ES3_mN6thrust23THRUST_200600_302600_NS17counting_iteratorIiNSA_11use_defaultESC_SC_EEPS6_NSA_18transform_iteratorINSA_8identityIiEENSA_6detail15normal_iteratorINSA_10device_ptrIiEEEESC_SC_EENS0_5tupleIJSM_S6_EEENSO_IJSE_SE_EEES6_PlJS6_EEE10hipError_tPvRmT3_T4_T5_T6_T7_T9_mT8_P12ihipStream_tbDpT10_ENKUlT_T0_E_clISt17integral_constantIbLb0EES1A_IbLb1EEEEDaS16_S17_EUlS16_E_NS1_11comp_targetILNS1_3genE5ELNS1_11target_archE942ELNS1_3gpuE9ELNS1_3repE0EEENS1_30default_config_static_selectorELNS0_4arch9wavefront6targetE0EEEvT1_.num_named_barrier, 0
	.set _ZN7rocprim17ROCPRIM_400000_NS6detail17trampoline_kernelINS0_14default_configENS1_25partition_config_selectorILNS1_17partition_subalgoE5EiNS0_10empty_typeEbEEZZNS1_14partition_implILS5_5ELb0ES3_mN6thrust23THRUST_200600_302600_NS17counting_iteratorIiNSA_11use_defaultESC_SC_EEPS6_NSA_18transform_iteratorINSA_8identityIiEENSA_6detail15normal_iteratorINSA_10device_ptrIiEEEESC_SC_EENS0_5tupleIJSM_S6_EEENSO_IJSE_SE_EEES6_PlJS6_EEE10hipError_tPvRmT3_T4_T5_T6_T7_T9_mT8_P12ihipStream_tbDpT10_ENKUlT_T0_E_clISt17integral_constantIbLb0EES1A_IbLb1EEEEDaS16_S17_EUlS16_E_NS1_11comp_targetILNS1_3genE5ELNS1_11target_archE942ELNS1_3gpuE9ELNS1_3repE0EEENS1_30default_config_static_selectorELNS0_4arch9wavefront6targetE0EEEvT1_.private_seg_size, 0
	.set _ZN7rocprim17ROCPRIM_400000_NS6detail17trampoline_kernelINS0_14default_configENS1_25partition_config_selectorILNS1_17partition_subalgoE5EiNS0_10empty_typeEbEEZZNS1_14partition_implILS5_5ELb0ES3_mN6thrust23THRUST_200600_302600_NS17counting_iteratorIiNSA_11use_defaultESC_SC_EEPS6_NSA_18transform_iteratorINSA_8identityIiEENSA_6detail15normal_iteratorINSA_10device_ptrIiEEEESC_SC_EENS0_5tupleIJSM_S6_EEENSO_IJSE_SE_EEES6_PlJS6_EEE10hipError_tPvRmT3_T4_T5_T6_T7_T9_mT8_P12ihipStream_tbDpT10_ENKUlT_T0_E_clISt17integral_constantIbLb0EES1A_IbLb1EEEEDaS16_S17_EUlS16_E_NS1_11comp_targetILNS1_3genE5ELNS1_11target_archE942ELNS1_3gpuE9ELNS1_3repE0EEENS1_30default_config_static_selectorELNS0_4arch9wavefront6targetE0EEEvT1_.uses_vcc, 0
	.set _ZN7rocprim17ROCPRIM_400000_NS6detail17trampoline_kernelINS0_14default_configENS1_25partition_config_selectorILNS1_17partition_subalgoE5EiNS0_10empty_typeEbEEZZNS1_14partition_implILS5_5ELb0ES3_mN6thrust23THRUST_200600_302600_NS17counting_iteratorIiNSA_11use_defaultESC_SC_EEPS6_NSA_18transform_iteratorINSA_8identityIiEENSA_6detail15normal_iteratorINSA_10device_ptrIiEEEESC_SC_EENS0_5tupleIJSM_S6_EEENSO_IJSE_SE_EEES6_PlJS6_EEE10hipError_tPvRmT3_T4_T5_T6_T7_T9_mT8_P12ihipStream_tbDpT10_ENKUlT_T0_E_clISt17integral_constantIbLb0EES1A_IbLb1EEEEDaS16_S17_EUlS16_E_NS1_11comp_targetILNS1_3genE5ELNS1_11target_archE942ELNS1_3gpuE9ELNS1_3repE0EEENS1_30default_config_static_selectorELNS0_4arch9wavefront6targetE0EEEvT1_.uses_flat_scratch, 0
	.set _ZN7rocprim17ROCPRIM_400000_NS6detail17trampoline_kernelINS0_14default_configENS1_25partition_config_selectorILNS1_17partition_subalgoE5EiNS0_10empty_typeEbEEZZNS1_14partition_implILS5_5ELb0ES3_mN6thrust23THRUST_200600_302600_NS17counting_iteratorIiNSA_11use_defaultESC_SC_EEPS6_NSA_18transform_iteratorINSA_8identityIiEENSA_6detail15normal_iteratorINSA_10device_ptrIiEEEESC_SC_EENS0_5tupleIJSM_S6_EEENSO_IJSE_SE_EEES6_PlJS6_EEE10hipError_tPvRmT3_T4_T5_T6_T7_T9_mT8_P12ihipStream_tbDpT10_ENKUlT_T0_E_clISt17integral_constantIbLb0EES1A_IbLb1EEEEDaS16_S17_EUlS16_E_NS1_11comp_targetILNS1_3genE5ELNS1_11target_archE942ELNS1_3gpuE9ELNS1_3repE0EEENS1_30default_config_static_selectorELNS0_4arch9wavefront6targetE0EEEvT1_.has_dyn_sized_stack, 0
	.set _ZN7rocprim17ROCPRIM_400000_NS6detail17trampoline_kernelINS0_14default_configENS1_25partition_config_selectorILNS1_17partition_subalgoE5EiNS0_10empty_typeEbEEZZNS1_14partition_implILS5_5ELb0ES3_mN6thrust23THRUST_200600_302600_NS17counting_iteratorIiNSA_11use_defaultESC_SC_EEPS6_NSA_18transform_iteratorINSA_8identityIiEENSA_6detail15normal_iteratorINSA_10device_ptrIiEEEESC_SC_EENS0_5tupleIJSM_S6_EEENSO_IJSE_SE_EEES6_PlJS6_EEE10hipError_tPvRmT3_T4_T5_T6_T7_T9_mT8_P12ihipStream_tbDpT10_ENKUlT_T0_E_clISt17integral_constantIbLb0EES1A_IbLb1EEEEDaS16_S17_EUlS16_E_NS1_11comp_targetILNS1_3genE5ELNS1_11target_archE942ELNS1_3gpuE9ELNS1_3repE0EEENS1_30default_config_static_selectorELNS0_4arch9wavefront6targetE0EEEvT1_.has_recursion, 0
	.set _ZN7rocprim17ROCPRIM_400000_NS6detail17trampoline_kernelINS0_14default_configENS1_25partition_config_selectorILNS1_17partition_subalgoE5EiNS0_10empty_typeEbEEZZNS1_14partition_implILS5_5ELb0ES3_mN6thrust23THRUST_200600_302600_NS17counting_iteratorIiNSA_11use_defaultESC_SC_EEPS6_NSA_18transform_iteratorINSA_8identityIiEENSA_6detail15normal_iteratorINSA_10device_ptrIiEEEESC_SC_EENS0_5tupleIJSM_S6_EEENSO_IJSE_SE_EEES6_PlJS6_EEE10hipError_tPvRmT3_T4_T5_T6_T7_T9_mT8_P12ihipStream_tbDpT10_ENKUlT_T0_E_clISt17integral_constantIbLb0EES1A_IbLb1EEEEDaS16_S17_EUlS16_E_NS1_11comp_targetILNS1_3genE5ELNS1_11target_archE942ELNS1_3gpuE9ELNS1_3repE0EEENS1_30default_config_static_selectorELNS0_4arch9wavefront6targetE0EEEvT1_.has_indirect_call, 0
	.section	.AMDGPU.csdata,"",@progbits
; Kernel info:
; codeLenInByte = 0
; TotalNumSgprs: 0
; NumVgprs: 0
; ScratchSize: 0
; MemoryBound: 0
; FloatMode: 240
; IeeeMode: 1
; LDSByteSize: 0 bytes/workgroup (compile time only)
; SGPRBlocks: 0
; VGPRBlocks: 0
; NumSGPRsForWavesPerEU: 1
; NumVGPRsForWavesPerEU: 1
; Occupancy: 16
; WaveLimiterHint : 0
; COMPUTE_PGM_RSRC2:SCRATCH_EN: 0
; COMPUTE_PGM_RSRC2:USER_SGPR: 2
; COMPUTE_PGM_RSRC2:TRAP_HANDLER: 0
; COMPUTE_PGM_RSRC2:TGID_X_EN: 1
; COMPUTE_PGM_RSRC2:TGID_Y_EN: 0
; COMPUTE_PGM_RSRC2:TGID_Z_EN: 0
; COMPUTE_PGM_RSRC2:TIDIG_COMP_CNT: 0
	.section	.text._ZN7rocprim17ROCPRIM_400000_NS6detail17trampoline_kernelINS0_14default_configENS1_25partition_config_selectorILNS1_17partition_subalgoE5EiNS0_10empty_typeEbEEZZNS1_14partition_implILS5_5ELb0ES3_mN6thrust23THRUST_200600_302600_NS17counting_iteratorIiNSA_11use_defaultESC_SC_EEPS6_NSA_18transform_iteratorINSA_8identityIiEENSA_6detail15normal_iteratorINSA_10device_ptrIiEEEESC_SC_EENS0_5tupleIJSM_S6_EEENSO_IJSE_SE_EEES6_PlJS6_EEE10hipError_tPvRmT3_T4_T5_T6_T7_T9_mT8_P12ihipStream_tbDpT10_ENKUlT_T0_E_clISt17integral_constantIbLb0EES1A_IbLb1EEEEDaS16_S17_EUlS16_E_NS1_11comp_targetILNS1_3genE4ELNS1_11target_archE910ELNS1_3gpuE8ELNS1_3repE0EEENS1_30default_config_static_selectorELNS0_4arch9wavefront6targetE0EEEvT1_,"axG",@progbits,_ZN7rocprim17ROCPRIM_400000_NS6detail17trampoline_kernelINS0_14default_configENS1_25partition_config_selectorILNS1_17partition_subalgoE5EiNS0_10empty_typeEbEEZZNS1_14partition_implILS5_5ELb0ES3_mN6thrust23THRUST_200600_302600_NS17counting_iteratorIiNSA_11use_defaultESC_SC_EEPS6_NSA_18transform_iteratorINSA_8identityIiEENSA_6detail15normal_iteratorINSA_10device_ptrIiEEEESC_SC_EENS0_5tupleIJSM_S6_EEENSO_IJSE_SE_EEES6_PlJS6_EEE10hipError_tPvRmT3_T4_T5_T6_T7_T9_mT8_P12ihipStream_tbDpT10_ENKUlT_T0_E_clISt17integral_constantIbLb0EES1A_IbLb1EEEEDaS16_S17_EUlS16_E_NS1_11comp_targetILNS1_3genE4ELNS1_11target_archE910ELNS1_3gpuE8ELNS1_3repE0EEENS1_30default_config_static_selectorELNS0_4arch9wavefront6targetE0EEEvT1_,comdat
	.protected	_ZN7rocprim17ROCPRIM_400000_NS6detail17trampoline_kernelINS0_14default_configENS1_25partition_config_selectorILNS1_17partition_subalgoE5EiNS0_10empty_typeEbEEZZNS1_14partition_implILS5_5ELb0ES3_mN6thrust23THRUST_200600_302600_NS17counting_iteratorIiNSA_11use_defaultESC_SC_EEPS6_NSA_18transform_iteratorINSA_8identityIiEENSA_6detail15normal_iteratorINSA_10device_ptrIiEEEESC_SC_EENS0_5tupleIJSM_S6_EEENSO_IJSE_SE_EEES6_PlJS6_EEE10hipError_tPvRmT3_T4_T5_T6_T7_T9_mT8_P12ihipStream_tbDpT10_ENKUlT_T0_E_clISt17integral_constantIbLb0EES1A_IbLb1EEEEDaS16_S17_EUlS16_E_NS1_11comp_targetILNS1_3genE4ELNS1_11target_archE910ELNS1_3gpuE8ELNS1_3repE0EEENS1_30default_config_static_selectorELNS0_4arch9wavefront6targetE0EEEvT1_ ; -- Begin function _ZN7rocprim17ROCPRIM_400000_NS6detail17trampoline_kernelINS0_14default_configENS1_25partition_config_selectorILNS1_17partition_subalgoE5EiNS0_10empty_typeEbEEZZNS1_14partition_implILS5_5ELb0ES3_mN6thrust23THRUST_200600_302600_NS17counting_iteratorIiNSA_11use_defaultESC_SC_EEPS6_NSA_18transform_iteratorINSA_8identityIiEENSA_6detail15normal_iteratorINSA_10device_ptrIiEEEESC_SC_EENS0_5tupleIJSM_S6_EEENSO_IJSE_SE_EEES6_PlJS6_EEE10hipError_tPvRmT3_T4_T5_T6_T7_T9_mT8_P12ihipStream_tbDpT10_ENKUlT_T0_E_clISt17integral_constantIbLb0EES1A_IbLb1EEEEDaS16_S17_EUlS16_E_NS1_11comp_targetILNS1_3genE4ELNS1_11target_archE910ELNS1_3gpuE8ELNS1_3repE0EEENS1_30default_config_static_selectorELNS0_4arch9wavefront6targetE0EEEvT1_
	.globl	_ZN7rocprim17ROCPRIM_400000_NS6detail17trampoline_kernelINS0_14default_configENS1_25partition_config_selectorILNS1_17partition_subalgoE5EiNS0_10empty_typeEbEEZZNS1_14partition_implILS5_5ELb0ES3_mN6thrust23THRUST_200600_302600_NS17counting_iteratorIiNSA_11use_defaultESC_SC_EEPS6_NSA_18transform_iteratorINSA_8identityIiEENSA_6detail15normal_iteratorINSA_10device_ptrIiEEEESC_SC_EENS0_5tupleIJSM_S6_EEENSO_IJSE_SE_EEES6_PlJS6_EEE10hipError_tPvRmT3_T4_T5_T6_T7_T9_mT8_P12ihipStream_tbDpT10_ENKUlT_T0_E_clISt17integral_constantIbLb0EES1A_IbLb1EEEEDaS16_S17_EUlS16_E_NS1_11comp_targetILNS1_3genE4ELNS1_11target_archE910ELNS1_3gpuE8ELNS1_3repE0EEENS1_30default_config_static_selectorELNS0_4arch9wavefront6targetE0EEEvT1_
	.p2align	8
	.type	_ZN7rocprim17ROCPRIM_400000_NS6detail17trampoline_kernelINS0_14default_configENS1_25partition_config_selectorILNS1_17partition_subalgoE5EiNS0_10empty_typeEbEEZZNS1_14partition_implILS5_5ELb0ES3_mN6thrust23THRUST_200600_302600_NS17counting_iteratorIiNSA_11use_defaultESC_SC_EEPS6_NSA_18transform_iteratorINSA_8identityIiEENSA_6detail15normal_iteratorINSA_10device_ptrIiEEEESC_SC_EENS0_5tupleIJSM_S6_EEENSO_IJSE_SE_EEES6_PlJS6_EEE10hipError_tPvRmT3_T4_T5_T6_T7_T9_mT8_P12ihipStream_tbDpT10_ENKUlT_T0_E_clISt17integral_constantIbLb0EES1A_IbLb1EEEEDaS16_S17_EUlS16_E_NS1_11comp_targetILNS1_3genE4ELNS1_11target_archE910ELNS1_3gpuE8ELNS1_3repE0EEENS1_30default_config_static_selectorELNS0_4arch9wavefront6targetE0EEEvT1_,@function
_ZN7rocprim17ROCPRIM_400000_NS6detail17trampoline_kernelINS0_14default_configENS1_25partition_config_selectorILNS1_17partition_subalgoE5EiNS0_10empty_typeEbEEZZNS1_14partition_implILS5_5ELb0ES3_mN6thrust23THRUST_200600_302600_NS17counting_iteratorIiNSA_11use_defaultESC_SC_EEPS6_NSA_18transform_iteratorINSA_8identityIiEENSA_6detail15normal_iteratorINSA_10device_ptrIiEEEESC_SC_EENS0_5tupleIJSM_S6_EEENSO_IJSE_SE_EEES6_PlJS6_EEE10hipError_tPvRmT3_T4_T5_T6_T7_T9_mT8_P12ihipStream_tbDpT10_ENKUlT_T0_E_clISt17integral_constantIbLb0EES1A_IbLb1EEEEDaS16_S17_EUlS16_E_NS1_11comp_targetILNS1_3genE4ELNS1_11target_archE910ELNS1_3gpuE8ELNS1_3repE0EEENS1_30default_config_static_selectorELNS0_4arch9wavefront6targetE0EEEvT1_: ; @_ZN7rocprim17ROCPRIM_400000_NS6detail17trampoline_kernelINS0_14default_configENS1_25partition_config_selectorILNS1_17partition_subalgoE5EiNS0_10empty_typeEbEEZZNS1_14partition_implILS5_5ELb0ES3_mN6thrust23THRUST_200600_302600_NS17counting_iteratorIiNSA_11use_defaultESC_SC_EEPS6_NSA_18transform_iteratorINSA_8identityIiEENSA_6detail15normal_iteratorINSA_10device_ptrIiEEEESC_SC_EENS0_5tupleIJSM_S6_EEENSO_IJSE_SE_EEES6_PlJS6_EEE10hipError_tPvRmT3_T4_T5_T6_T7_T9_mT8_P12ihipStream_tbDpT10_ENKUlT_T0_E_clISt17integral_constantIbLb0EES1A_IbLb1EEEEDaS16_S17_EUlS16_E_NS1_11comp_targetILNS1_3genE4ELNS1_11target_archE910ELNS1_3gpuE8ELNS1_3repE0EEENS1_30default_config_static_selectorELNS0_4arch9wavefront6targetE0EEEvT1_
; %bb.0:
	.section	.rodata,"a",@progbits
	.p2align	6, 0x0
	.amdhsa_kernel _ZN7rocprim17ROCPRIM_400000_NS6detail17trampoline_kernelINS0_14default_configENS1_25partition_config_selectorILNS1_17partition_subalgoE5EiNS0_10empty_typeEbEEZZNS1_14partition_implILS5_5ELb0ES3_mN6thrust23THRUST_200600_302600_NS17counting_iteratorIiNSA_11use_defaultESC_SC_EEPS6_NSA_18transform_iteratorINSA_8identityIiEENSA_6detail15normal_iteratorINSA_10device_ptrIiEEEESC_SC_EENS0_5tupleIJSM_S6_EEENSO_IJSE_SE_EEES6_PlJS6_EEE10hipError_tPvRmT3_T4_T5_T6_T7_T9_mT8_P12ihipStream_tbDpT10_ENKUlT_T0_E_clISt17integral_constantIbLb0EES1A_IbLb1EEEEDaS16_S17_EUlS16_E_NS1_11comp_targetILNS1_3genE4ELNS1_11target_archE910ELNS1_3gpuE8ELNS1_3repE0EEENS1_30default_config_static_selectorELNS0_4arch9wavefront6targetE0EEEvT1_
		.amdhsa_group_segment_fixed_size 0
		.amdhsa_private_segment_fixed_size 0
		.amdhsa_kernarg_size 136
		.amdhsa_user_sgpr_count 2
		.amdhsa_user_sgpr_dispatch_ptr 0
		.amdhsa_user_sgpr_queue_ptr 0
		.amdhsa_user_sgpr_kernarg_segment_ptr 1
		.amdhsa_user_sgpr_dispatch_id 0
		.amdhsa_user_sgpr_private_segment_size 0
		.amdhsa_wavefront_size32 1
		.amdhsa_uses_dynamic_stack 0
		.amdhsa_enable_private_segment 0
		.amdhsa_system_sgpr_workgroup_id_x 1
		.amdhsa_system_sgpr_workgroup_id_y 0
		.amdhsa_system_sgpr_workgroup_id_z 0
		.amdhsa_system_sgpr_workgroup_info 0
		.amdhsa_system_vgpr_workitem_id 0
		.amdhsa_next_free_vgpr 1
		.amdhsa_next_free_sgpr 1
		.amdhsa_reserve_vcc 0
		.amdhsa_float_round_mode_32 0
		.amdhsa_float_round_mode_16_64 0
		.amdhsa_float_denorm_mode_32 3
		.amdhsa_float_denorm_mode_16_64 3
		.amdhsa_fp16_overflow 0
		.amdhsa_workgroup_processor_mode 1
		.amdhsa_memory_ordered 1
		.amdhsa_forward_progress 1
		.amdhsa_inst_pref_size 0
		.amdhsa_round_robin_scheduling 0
		.amdhsa_exception_fp_ieee_invalid_op 0
		.amdhsa_exception_fp_denorm_src 0
		.amdhsa_exception_fp_ieee_div_zero 0
		.amdhsa_exception_fp_ieee_overflow 0
		.amdhsa_exception_fp_ieee_underflow 0
		.amdhsa_exception_fp_ieee_inexact 0
		.amdhsa_exception_int_div_zero 0
	.end_amdhsa_kernel
	.section	.text._ZN7rocprim17ROCPRIM_400000_NS6detail17trampoline_kernelINS0_14default_configENS1_25partition_config_selectorILNS1_17partition_subalgoE5EiNS0_10empty_typeEbEEZZNS1_14partition_implILS5_5ELb0ES3_mN6thrust23THRUST_200600_302600_NS17counting_iteratorIiNSA_11use_defaultESC_SC_EEPS6_NSA_18transform_iteratorINSA_8identityIiEENSA_6detail15normal_iteratorINSA_10device_ptrIiEEEESC_SC_EENS0_5tupleIJSM_S6_EEENSO_IJSE_SE_EEES6_PlJS6_EEE10hipError_tPvRmT3_T4_T5_T6_T7_T9_mT8_P12ihipStream_tbDpT10_ENKUlT_T0_E_clISt17integral_constantIbLb0EES1A_IbLb1EEEEDaS16_S17_EUlS16_E_NS1_11comp_targetILNS1_3genE4ELNS1_11target_archE910ELNS1_3gpuE8ELNS1_3repE0EEENS1_30default_config_static_selectorELNS0_4arch9wavefront6targetE0EEEvT1_,"axG",@progbits,_ZN7rocprim17ROCPRIM_400000_NS6detail17trampoline_kernelINS0_14default_configENS1_25partition_config_selectorILNS1_17partition_subalgoE5EiNS0_10empty_typeEbEEZZNS1_14partition_implILS5_5ELb0ES3_mN6thrust23THRUST_200600_302600_NS17counting_iteratorIiNSA_11use_defaultESC_SC_EEPS6_NSA_18transform_iteratorINSA_8identityIiEENSA_6detail15normal_iteratorINSA_10device_ptrIiEEEESC_SC_EENS0_5tupleIJSM_S6_EEENSO_IJSE_SE_EEES6_PlJS6_EEE10hipError_tPvRmT3_T4_T5_T6_T7_T9_mT8_P12ihipStream_tbDpT10_ENKUlT_T0_E_clISt17integral_constantIbLb0EES1A_IbLb1EEEEDaS16_S17_EUlS16_E_NS1_11comp_targetILNS1_3genE4ELNS1_11target_archE910ELNS1_3gpuE8ELNS1_3repE0EEENS1_30default_config_static_selectorELNS0_4arch9wavefront6targetE0EEEvT1_,comdat
.Lfunc_end39:
	.size	_ZN7rocprim17ROCPRIM_400000_NS6detail17trampoline_kernelINS0_14default_configENS1_25partition_config_selectorILNS1_17partition_subalgoE5EiNS0_10empty_typeEbEEZZNS1_14partition_implILS5_5ELb0ES3_mN6thrust23THRUST_200600_302600_NS17counting_iteratorIiNSA_11use_defaultESC_SC_EEPS6_NSA_18transform_iteratorINSA_8identityIiEENSA_6detail15normal_iteratorINSA_10device_ptrIiEEEESC_SC_EENS0_5tupleIJSM_S6_EEENSO_IJSE_SE_EEES6_PlJS6_EEE10hipError_tPvRmT3_T4_T5_T6_T7_T9_mT8_P12ihipStream_tbDpT10_ENKUlT_T0_E_clISt17integral_constantIbLb0EES1A_IbLb1EEEEDaS16_S17_EUlS16_E_NS1_11comp_targetILNS1_3genE4ELNS1_11target_archE910ELNS1_3gpuE8ELNS1_3repE0EEENS1_30default_config_static_selectorELNS0_4arch9wavefront6targetE0EEEvT1_, .Lfunc_end39-_ZN7rocprim17ROCPRIM_400000_NS6detail17trampoline_kernelINS0_14default_configENS1_25partition_config_selectorILNS1_17partition_subalgoE5EiNS0_10empty_typeEbEEZZNS1_14partition_implILS5_5ELb0ES3_mN6thrust23THRUST_200600_302600_NS17counting_iteratorIiNSA_11use_defaultESC_SC_EEPS6_NSA_18transform_iteratorINSA_8identityIiEENSA_6detail15normal_iteratorINSA_10device_ptrIiEEEESC_SC_EENS0_5tupleIJSM_S6_EEENSO_IJSE_SE_EEES6_PlJS6_EEE10hipError_tPvRmT3_T4_T5_T6_T7_T9_mT8_P12ihipStream_tbDpT10_ENKUlT_T0_E_clISt17integral_constantIbLb0EES1A_IbLb1EEEEDaS16_S17_EUlS16_E_NS1_11comp_targetILNS1_3genE4ELNS1_11target_archE910ELNS1_3gpuE8ELNS1_3repE0EEENS1_30default_config_static_selectorELNS0_4arch9wavefront6targetE0EEEvT1_
                                        ; -- End function
	.set _ZN7rocprim17ROCPRIM_400000_NS6detail17trampoline_kernelINS0_14default_configENS1_25partition_config_selectorILNS1_17partition_subalgoE5EiNS0_10empty_typeEbEEZZNS1_14partition_implILS5_5ELb0ES3_mN6thrust23THRUST_200600_302600_NS17counting_iteratorIiNSA_11use_defaultESC_SC_EEPS6_NSA_18transform_iteratorINSA_8identityIiEENSA_6detail15normal_iteratorINSA_10device_ptrIiEEEESC_SC_EENS0_5tupleIJSM_S6_EEENSO_IJSE_SE_EEES6_PlJS6_EEE10hipError_tPvRmT3_T4_T5_T6_T7_T9_mT8_P12ihipStream_tbDpT10_ENKUlT_T0_E_clISt17integral_constantIbLb0EES1A_IbLb1EEEEDaS16_S17_EUlS16_E_NS1_11comp_targetILNS1_3genE4ELNS1_11target_archE910ELNS1_3gpuE8ELNS1_3repE0EEENS1_30default_config_static_selectorELNS0_4arch9wavefront6targetE0EEEvT1_.num_vgpr, 0
	.set _ZN7rocprim17ROCPRIM_400000_NS6detail17trampoline_kernelINS0_14default_configENS1_25partition_config_selectorILNS1_17partition_subalgoE5EiNS0_10empty_typeEbEEZZNS1_14partition_implILS5_5ELb0ES3_mN6thrust23THRUST_200600_302600_NS17counting_iteratorIiNSA_11use_defaultESC_SC_EEPS6_NSA_18transform_iteratorINSA_8identityIiEENSA_6detail15normal_iteratorINSA_10device_ptrIiEEEESC_SC_EENS0_5tupleIJSM_S6_EEENSO_IJSE_SE_EEES6_PlJS6_EEE10hipError_tPvRmT3_T4_T5_T6_T7_T9_mT8_P12ihipStream_tbDpT10_ENKUlT_T0_E_clISt17integral_constantIbLb0EES1A_IbLb1EEEEDaS16_S17_EUlS16_E_NS1_11comp_targetILNS1_3genE4ELNS1_11target_archE910ELNS1_3gpuE8ELNS1_3repE0EEENS1_30default_config_static_selectorELNS0_4arch9wavefront6targetE0EEEvT1_.num_agpr, 0
	.set _ZN7rocprim17ROCPRIM_400000_NS6detail17trampoline_kernelINS0_14default_configENS1_25partition_config_selectorILNS1_17partition_subalgoE5EiNS0_10empty_typeEbEEZZNS1_14partition_implILS5_5ELb0ES3_mN6thrust23THRUST_200600_302600_NS17counting_iteratorIiNSA_11use_defaultESC_SC_EEPS6_NSA_18transform_iteratorINSA_8identityIiEENSA_6detail15normal_iteratorINSA_10device_ptrIiEEEESC_SC_EENS0_5tupleIJSM_S6_EEENSO_IJSE_SE_EEES6_PlJS6_EEE10hipError_tPvRmT3_T4_T5_T6_T7_T9_mT8_P12ihipStream_tbDpT10_ENKUlT_T0_E_clISt17integral_constantIbLb0EES1A_IbLb1EEEEDaS16_S17_EUlS16_E_NS1_11comp_targetILNS1_3genE4ELNS1_11target_archE910ELNS1_3gpuE8ELNS1_3repE0EEENS1_30default_config_static_selectorELNS0_4arch9wavefront6targetE0EEEvT1_.numbered_sgpr, 0
	.set _ZN7rocprim17ROCPRIM_400000_NS6detail17trampoline_kernelINS0_14default_configENS1_25partition_config_selectorILNS1_17partition_subalgoE5EiNS0_10empty_typeEbEEZZNS1_14partition_implILS5_5ELb0ES3_mN6thrust23THRUST_200600_302600_NS17counting_iteratorIiNSA_11use_defaultESC_SC_EEPS6_NSA_18transform_iteratorINSA_8identityIiEENSA_6detail15normal_iteratorINSA_10device_ptrIiEEEESC_SC_EENS0_5tupleIJSM_S6_EEENSO_IJSE_SE_EEES6_PlJS6_EEE10hipError_tPvRmT3_T4_T5_T6_T7_T9_mT8_P12ihipStream_tbDpT10_ENKUlT_T0_E_clISt17integral_constantIbLb0EES1A_IbLb1EEEEDaS16_S17_EUlS16_E_NS1_11comp_targetILNS1_3genE4ELNS1_11target_archE910ELNS1_3gpuE8ELNS1_3repE0EEENS1_30default_config_static_selectorELNS0_4arch9wavefront6targetE0EEEvT1_.num_named_barrier, 0
	.set _ZN7rocprim17ROCPRIM_400000_NS6detail17trampoline_kernelINS0_14default_configENS1_25partition_config_selectorILNS1_17partition_subalgoE5EiNS0_10empty_typeEbEEZZNS1_14partition_implILS5_5ELb0ES3_mN6thrust23THRUST_200600_302600_NS17counting_iteratorIiNSA_11use_defaultESC_SC_EEPS6_NSA_18transform_iteratorINSA_8identityIiEENSA_6detail15normal_iteratorINSA_10device_ptrIiEEEESC_SC_EENS0_5tupleIJSM_S6_EEENSO_IJSE_SE_EEES6_PlJS6_EEE10hipError_tPvRmT3_T4_T5_T6_T7_T9_mT8_P12ihipStream_tbDpT10_ENKUlT_T0_E_clISt17integral_constantIbLb0EES1A_IbLb1EEEEDaS16_S17_EUlS16_E_NS1_11comp_targetILNS1_3genE4ELNS1_11target_archE910ELNS1_3gpuE8ELNS1_3repE0EEENS1_30default_config_static_selectorELNS0_4arch9wavefront6targetE0EEEvT1_.private_seg_size, 0
	.set _ZN7rocprim17ROCPRIM_400000_NS6detail17trampoline_kernelINS0_14default_configENS1_25partition_config_selectorILNS1_17partition_subalgoE5EiNS0_10empty_typeEbEEZZNS1_14partition_implILS5_5ELb0ES3_mN6thrust23THRUST_200600_302600_NS17counting_iteratorIiNSA_11use_defaultESC_SC_EEPS6_NSA_18transform_iteratorINSA_8identityIiEENSA_6detail15normal_iteratorINSA_10device_ptrIiEEEESC_SC_EENS0_5tupleIJSM_S6_EEENSO_IJSE_SE_EEES6_PlJS6_EEE10hipError_tPvRmT3_T4_T5_T6_T7_T9_mT8_P12ihipStream_tbDpT10_ENKUlT_T0_E_clISt17integral_constantIbLb0EES1A_IbLb1EEEEDaS16_S17_EUlS16_E_NS1_11comp_targetILNS1_3genE4ELNS1_11target_archE910ELNS1_3gpuE8ELNS1_3repE0EEENS1_30default_config_static_selectorELNS0_4arch9wavefront6targetE0EEEvT1_.uses_vcc, 0
	.set _ZN7rocprim17ROCPRIM_400000_NS6detail17trampoline_kernelINS0_14default_configENS1_25partition_config_selectorILNS1_17partition_subalgoE5EiNS0_10empty_typeEbEEZZNS1_14partition_implILS5_5ELb0ES3_mN6thrust23THRUST_200600_302600_NS17counting_iteratorIiNSA_11use_defaultESC_SC_EEPS6_NSA_18transform_iteratorINSA_8identityIiEENSA_6detail15normal_iteratorINSA_10device_ptrIiEEEESC_SC_EENS0_5tupleIJSM_S6_EEENSO_IJSE_SE_EEES6_PlJS6_EEE10hipError_tPvRmT3_T4_T5_T6_T7_T9_mT8_P12ihipStream_tbDpT10_ENKUlT_T0_E_clISt17integral_constantIbLb0EES1A_IbLb1EEEEDaS16_S17_EUlS16_E_NS1_11comp_targetILNS1_3genE4ELNS1_11target_archE910ELNS1_3gpuE8ELNS1_3repE0EEENS1_30default_config_static_selectorELNS0_4arch9wavefront6targetE0EEEvT1_.uses_flat_scratch, 0
	.set _ZN7rocprim17ROCPRIM_400000_NS6detail17trampoline_kernelINS0_14default_configENS1_25partition_config_selectorILNS1_17partition_subalgoE5EiNS0_10empty_typeEbEEZZNS1_14partition_implILS5_5ELb0ES3_mN6thrust23THRUST_200600_302600_NS17counting_iteratorIiNSA_11use_defaultESC_SC_EEPS6_NSA_18transform_iteratorINSA_8identityIiEENSA_6detail15normal_iteratorINSA_10device_ptrIiEEEESC_SC_EENS0_5tupleIJSM_S6_EEENSO_IJSE_SE_EEES6_PlJS6_EEE10hipError_tPvRmT3_T4_T5_T6_T7_T9_mT8_P12ihipStream_tbDpT10_ENKUlT_T0_E_clISt17integral_constantIbLb0EES1A_IbLb1EEEEDaS16_S17_EUlS16_E_NS1_11comp_targetILNS1_3genE4ELNS1_11target_archE910ELNS1_3gpuE8ELNS1_3repE0EEENS1_30default_config_static_selectorELNS0_4arch9wavefront6targetE0EEEvT1_.has_dyn_sized_stack, 0
	.set _ZN7rocprim17ROCPRIM_400000_NS6detail17trampoline_kernelINS0_14default_configENS1_25partition_config_selectorILNS1_17partition_subalgoE5EiNS0_10empty_typeEbEEZZNS1_14partition_implILS5_5ELb0ES3_mN6thrust23THRUST_200600_302600_NS17counting_iteratorIiNSA_11use_defaultESC_SC_EEPS6_NSA_18transform_iteratorINSA_8identityIiEENSA_6detail15normal_iteratorINSA_10device_ptrIiEEEESC_SC_EENS0_5tupleIJSM_S6_EEENSO_IJSE_SE_EEES6_PlJS6_EEE10hipError_tPvRmT3_T4_T5_T6_T7_T9_mT8_P12ihipStream_tbDpT10_ENKUlT_T0_E_clISt17integral_constantIbLb0EES1A_IbLb1EEEEDaS16_S17_EUlS16_E_NS1_11comp_targetILNS1_3genE4ELNS1_11target_archE910ELNS1_3gpuE8ELNS1_3repE0EEENS1_30default_config_static_selectorELNS0_4arch9wavefront6targetE0EEEvT1_.has_recursion, 0
	.set _ZN7rocprim17ROCPRIM_400000_NS6detail17trampoline_kernelINS0_14default_configENS1_25partition_config_selectorILNS1_17partition_subalgoE5EiNS0_10empty_typeEbEEZZNS1_14partition_implILS5_5ELb0ES3_mN6thrust23THRUST_200600_302600_NS17counting_iteratorIiNSA_11use_defaultESC_SC_EEPS6_NSA_18transform_iteratorINSA_8identityIiEENSA_6detail15normal_iteratorINSA_10device_ptrIiEEEESC_SC_EENS0_5tupleIJSM_S6_EEENSO_IJSE_SE_EEES6_PlJS6_EEE10hipError_tPvRmT3_T4_T5_T6_T7_T9_mT8_P12ihipStream_tbDpT10_ENKUlT_T0_E_clISt17integral_constantIbLb0EES1A_IbLb1EEEEDaS16_S17_EUlS16_E_NS1_11comp_targetILNS1_3genE4ELNS1_11target_archE910ELNS1_3gpuE8ELNS1_3repE0EEENS1_30default_config_static_selectorELNS0_4arch9wavefront6targetE0EEEvT1_.has_indirect_call, 0
	.section	.AMDGPU.csdata,"",@progbits
; Kernel info:
; codeLenInByte = 0
; TotalNumSgprs: 0
; NumVgprs: 0
; ScratchSize: 0
; MemoryBound: 0
; FloatMode: 240
; IeeeMode: 1
; LDSByteSize: 0 bytes/workgroup (compile time only)
; SGPRBlocks: 0
; VGPRBlocks: 0
; NumSGPRsForWavesPerEU: 1
; NumVGPRsForWavesPerEU: 1
; Occupancy: 16
; WaveLimiterHint : 0
; COMPUTE_PGM_RSRC2:SCRATCH_EN: 0
; COMPUTE_PGM_RSRC2:USER_SGPR: 2
; COMPUTE_PGM_RSRC2:TRAP_HANDLER: 0
; COMPUTE_PGM_RSRC2:TGID_X_EN: 1
; COMPUTE_PGM_RSRC2:TGID_Y_EN: 0
; COMPUTE_PGM_RSRC2:TGID_Z_EN: 0
; COMPUTE_PGM_RSRC2:TIDIG_COMP_CNT: 0
	.section	.text._ZN7rocprim17ROCPRIM_400000_NS6detail17trampoline_kernelINS0_14default_configENS1_25partition_config_selectorILNS1_17partition_subalgoE5EiNS0_10empty_typeEbEEZZNS1_14partition_implILS5_5ELb0ES3_mN6thrust23THRUST_200600_302600_NS17counting_iteratorIiNSA_11use_defaultESC_SC_EEPS6_NSA_18transform_iteratorINSA_8identityIiEENSA_6detail15normal_iteratorINSA_10device_ptrIiEEEESC_SC_EENS0_5tupleIJSM_S6_EEENSO_IJSE_SE_EEES6_PlJS6_EEE10hipError_tPvRmT3_T4_T5_T6_T7_T9_mT8_P12ihipStream_tbDpT10_ENKUlT_T0_E_clISt17integral_constantIbLb0EES1A_IbLb1EEEEDaS16_S17_EUlS16_E_NS1_11comp_targetILNS1_3genE3ELNS1_11target_archE908ELNS1_3gpuE7ELNS1_3repE0EEENS1_30default_config_static_selectorELNS0_4arch9wavefront6targetE0EEEvT1_,"axG",@progbits,_ZN7rocprim17ROCPRIM_400000_NS6detail17trampoline_kernelINS0_14default_configENS1_25partition_config_selectorILNS1_17partition_subalgoE5EiNS0_10empty_typeEbEEZZNS1_14partition_implILS5_5ELb0ES3_mN6thrust23THRUST_200600_302600_NS17counting_iteratorIiNSA_11use_defaultESC_SC_EEPS6_NSA_18transform_iteratorINSA_8identityIiEENSA_6detail15normal_iteratorINSA_10device_ptrIiEEEESC_SC_EENS0_5tupleIJSM_S6_EEENSO_IJSE_SE_EEES6_PlJS6_EEE10hipError_tPvRmT3_T4_T5_T6_T7_T9_mT8_P12ihipStream_tbDpT10_ENKUlT_T0_E_clISt17integral_constantIbLb0EES1A_IbLb1EEEEDaS16_S17_EUlS16_E_NS1_11comp_targetILNS1_3genE3ELNS1_11target_archE908ELNS1_3gpuE7ELNS1_3repE0EEENS1_30default_config_static_selectorELNS0_4arch9wavefront6targetE0EEEvT1_,comdat
	.protected	_ZN7rocprim17ROCPRIM_400000_NS6detail17trampoline_kernelINS0_14default_configENS1_25partition_config_selectorILNS1_17partition_subalgoE5EiNS0_10empty_typeEbEEZZNS1_14partition_implILS5_5ELb0ES3_mN6thrust23THRUST_200600_302600_NS17counting_iteratorIiNSA_11use_defaultESC_SC_EEPS6_NSA_18transform_iteratorINSA_8identityIiEENSA_6detail15normal_iteratorINSA_10device_ptrIiEEEESC_SC_EENS0_5tupleIJSM_S6_EEENSO_IJSE_SE_EEES6_PlJS6_EEE10hipError_tPvRmT3_T4_T5_T6_T7_T9_mT8_P12ihipStream_tbDpT10_ENKUlT_T0_E_clISt17integral_constantIbLb0EES1A_IbLb1EEEEDaS16_S17_EUlS16_E_NS1_11comp_targetILNS1_3genE3ELNS1_11target_archE908ELNS1_3gpuE7ELNS1_3repE0EEENS1_30default_config_static_selectorELNS0_4arch9wavefront6targetE0EEEvT1_ ; -- Begin function _ZN7rocprim17ROCPRIM_400000_NS6detail17trampoline_kernelINS0_14default_configENS1_25partition_config_selectorILNS1_17partition_subalgoE5EiNS0_10empty_typeEbEEZZNS1_14partition_implILS5_5ELb0ES3_mN6thrust23THRUST_200600_302600_NS17counting_iteratorIiNSA_11use_defaultESC_SC_EEPS6_NSA_18transform_iteratorINSA_8identityIiEENSA_6detail15normal_iteratorINSA_10device_ptrIiEEEESC_SC_EENS0_5tupleIJSM_S6_EEENSO_IJSE_SE_EEES6_PlJS6_EEE10hipError_tPvRmT3_T4_T5_T6_T7_T9_mT8_P12ihipStream_tbDpT10_ENKUlT_T0_E_clISt17integral_constantIbLb0EES1A_IbLb1EEEEDaS16_S17_EUlS16_E_NS1_11comp_targetILNS1_3genE3ELNS1_11target_archE908ELNS1_3gpuE7ELNS1_3repE0EEENS1_30default_config_static_selectorELNS0_4arch9wavefront6targetE0EEEvT1_
	.globl	_ZN7rocprim17ROCPRIM_400000_NS6detail17trampoline_kernelINS0_14default_configENS1_25partition_config_selectorILNS1_17partition_subalgoE5EiNS0_10empty_typeEbEEZZNS1_14partition_implILS5_5ELb0ES3_mN6thrust23THRUST_200600_302600_NS17counting_iteratorIiNSA_11use_defaultESC_SC_EEPS6_NSA_18transform_iteratorINSA_8identityIiEENSA_6detail15normal_iteratorINSA_10device_ptrIiEEEESC_SC_EENS0_5tupleIJSM_S6_EEENSO_IJSE_SE_EEES6_PlJS6_EEE10hipError_tPvRmT3_T4_T5_T6_T7_T9_mT8_P12ihipStream_tbDpT10_ENKUlT_T0_E_clISt17integral_constantIbLb0EES1A_IbLb1EEEEDaS16_S17_EUlS16_E_NS1_11comp_targetILNS1_3genE3ELNS1_11target_archE908ELNS1_3gpuE7ELNS1_3repE0EEENS1_30default_config_static_selectorELNS0_4arch9wavefront6targetE0EEEvT1_
	.p2align	8
	.type	_ZN7rocprim17ROCPRIM_400000_NS6detail17trampoline_kernelINS0_14default_configENS1_25partition_config_selectorILNS1_17partition_subalgoE5EiNS0_10empty_typeEbEEZZNS1_14partition_implILS5_5ELb0ES3_mN6thrust23THRUST_200600_302600_NS17counting_iteratorIiNSA_11use_defaultESC_SC_EEPS6_NSA_18transform_iteratorINSA_8identityIiEENSA_6detail15normal_iteratorINSA_10device_ptrIiEEEESC_SC_EENS0_5tupleIJSM_S6_EEENSO_IJSE_SE_EEES6_PlJS6_EEE10hipError_tPvRmT3_T4_T5_T6_T7_T9_mT8_P12ihipStream_tbDpT10_ENKUlT_T0_E_clISt17integral_constantIbLb0EES1A_IbLb1EEEEDaS16_S17_EUlS16_E_NS1_11comp_targetILNS1_3genE3ELNS1_11target_archE908ELNS1_3gpuE7ELNS1_3repE0EEENS1_30default_config_static_selectorELNS0_4arch9wavefront6targetE0EEEvT1_,@function
_ZN7rocprim17ROCPRIM_400000_NS6detail17trampoline_kernelINS0_14default_configENS1_25partition_config_selectorILNS1_17partition_subalgoE5EiNS0_10empty_typeEbEEZZNS1_14partition_implILS5_5ELb0ES3_mN6thrust23THRUST_200600_302600_NS17counting_iteratorIiNSA_11use_defaultESC_SC_EEPS6_NSA_18transform_iteratorINSA_8identityIiEENSA_6detail15normal_iteratorINSA_10device_ptrIiEEEESC_SC_EENS0_5tupleIJSM_S6_EEENSO_IJSE_SE_EEES6_PlJS6_EEE10hipError_tPvRmT3_T4_T5_T6_T7_T9_mT8_P12ihipStream_tbDpT10_ENKUlT_T0_E_clISt17integral_constantIbLb0EES1A_IbLb1EEEEDaS16_S17_EUlS16_E_NS1_11comp_targetILNS1_3genE3ELNS1_11target_archE908ELNS1_3gpuE7ELNS1_3repE0EEENS1_30default_config_static_selectorELNS0_4arch9wavefront6targetE0EEEvT1_: ; @_ZN7rocprim17ROCPRIM_400000_NS6detail17trampoline_kernelINS0_14default_configENS1_25partition_config_selectorILNS1_17partition_subalgoE5EiNS0_10empty_typeEbEEZZNS1_14partition_implILS5_5ELb0ES3_mN6thrust23THRUST_200600_302600_NS17counting_iteratorIiNSA_11use_defaultESC_SC_EEPS6_NSA_18transform_iteratorINSA_8identityIiEENSA_6detail15normal_iteratorINSA_10device_ptrIiEEEESC_SC_EENS0_5tupleIJSM_S6_EEENSO_IJSE_SE_EEES6_PlJS6_EEE10hipError_tPvRmT3_T4_T5_T6_T7_T9_mT8_P12ihipStream_tbDpT10_ENKUlT_T0_E_clISt17integral_constantIbLb0EES1A_IbLb1EEEEDaS16_S17_EUlS16_E_NS1_11comp_targetILNS1_3genE3ELNS1_11target_archE908ELNS1_3gpuE7ELNS1_3repE0EEENS1_30default_config_static_selectorELNS0_4arch9wavefront6targetE0EEEvT1_
; %bb.0:
	.section	.rodata,"a",@progbits
	.p2align	6, 0x0
	.amdhsa_kernel _ZN7rocprim17ROCPRIM_400000_NS6detail17trampoline_kernelINS0_14default_configENS1_25partition_config_selectorILNS1_17partition_subalgoE5EiNS0_10empty_typeEbEEZZNS1_14partition_implILS5_5ELb0ES3_mN6thrust23THRUST_200600_302600_NS17counting_iteratorIiNSA_11use_defaultESC_SC_EEPS6_NSA_18transform_iteratorINSA_8identityIiEENSA_6detail15normal_iteratorINSA_10device_ptrIiEEEESC_SC_EENS0_5tupleIJSM_S6_EEENSO_IJSE_SE_EEES6_PlJS6_EEE10hipError_tPvRmT3_T4_T5_T6_T7_T9_mT8_P12ihipStream_tbDpT10_ENKUlT_T0_E_clISt17integral_constantIbLb0EES1A_IbLb1EEEEDaS16_S17_EUlS16_E_NS1_11comp_targetILNS1_3genE3ELNS1_11target_archE908ELNS1_3gpuE7ELNS1_3repE0EEENS1_30default_config_static_selectorELNS0_4arch9wavefront6targetE0EEEvT1_
		.amdhsa_group_segment_fixed_size 0
		.amdhsa_private_segment_fixed_size 0
		.amdhsa_kernarg_size 136
		.amdhsa_user_sgpr_count 2
		.amdhsa_user_sgpr_dispatch_ptr 0
		.amdhsa_user_sgpr_queue_ptr 0
		.amdhsa_user_sgpr_kernarg_segment_ptr 1
		.amdhsa_user_sgpr_dispatch_id 0
		.amdhsa_user_sgpr_private_segment_size 0
		.amdhsa_wavefront_size32 1
		.amdhsa_uses_dynamic_stack 0
		.amdhsa_enable_private_segment 0
		.amdhsa_system_sgpr_workgroup_id_x 1
		.amdhsa_system_sgpr_workgroup_id_y 0
		.amdhsa_system_sgpr_workgroup_id_z 0
		.amdhsa_system_sgpr_workgroup_info 0
		.amdhsa_system_vgpr_workitem_id 0
		.amdhsa_next_free_vgpr 1
		.amdhsa_next_free_sgpr 1
		.amdhsa_reserve_vcc 0
		.amdhsa_float_round_mode_32 0
		.amdhsa_float_round_mode_16_64 0
		.amdhsa_float_denorm_mode_32 3
		.amdhsa_float_denorm_mode_16_64 3
		.amdhsa_fp16_overflow 0
		.amdhsa_workgroup_processor_mode 1
		.amdhsa_memory_ordered 1
		.amdhsa_forward_progress 1
		.amdhsa_inst_pref_size 0
		.amdhsa_round_robin_scheduling 0
		.amdhsa_exception_fp_ieee_invalid_op 0
		.amdhsa_exception_fp_denorm_src 0
		.amdhsa_exception_fp_ieee_div_zero 0
		.amdhsa_exception_fp_ieee_overflow 0
		.amdhsa_exception_fp_ieee_underflow 0
		.amdhsa_exception_fp_ieee_inexact 0
		.amdhsa_exception_int_div_zero 0
	.end_amdhsa_kernel
	.section	.text._ZN7rocprim17ROCPRIM_400000_NS6detail17trampoline_kernelINS0_14default_configENS1_25partition_config_selectorILNS1_17partition_subalgoE5EiNS0_10empty_typeEbEEZZNS1_14partition_implILS5_5ELb0ES3_mN6thrust23THRUST_200600_302600_NS17counting_iteratorIiNSA_11use_defaultESC_SC_EEPS6_NSA_18transform_iteratorINSA_8identityIiEENSA_6detail15normal_iteratorINSA_10device_ptrIiEEEESC_SC_EENS0_5tupleIJSM_S6_EEENSO_IJSE_SE_EEES6_PlJS6_EEE10hipError_tPvRmT3_T4_T5_T6_T7_T9_mT8_P12ihipStream_tbDpT10_ENKUlT_T0_E_clISt17integral_constantIbLb0EES1A_IbLb1EEEEDaS16_S17_EUlS16_E_NS1_11comp_targetILNS1_3genE3ELNS1_11target_archE908ELNS1_3gpuE7ELNS1_3repE0EEENS1_30default_config_static_selectorELNS0_4arch9wavefront6targetE0EEEvT1_,"axG",@progbits,_ZN7rocprim17ROCPRIM_400000_NS6detail17trampoline_kernelINS0_14default_configENS1_25partition_config_selectorILNS1_17partition_subalgoE5EiNS0_10empty_typeEbEEZZNS1_14partition_implILS5_5ELb0ES3_mN6thrust23THRUST_200600_302600_NS17counting_iteratorIiNSA_11use_defaultESC_SC_EEPS6_NSA_18transform_iteratorINSA_8identityIiEENSA_6detail15normal_iteratorINSA_10device_ptrIiEEEESC_SC_EENS0_5tupleIJSM_S6_EEENSO_IJSE_SE_EEES6_PlJS6_EEE10hipError_tPvRmT3_T4_T5_T6_T7_T9_mT8_P12ihipStream_tbDpT10_ENKUlT_T0_E_clISt17integral_constantIbLb0EES1A_IbLb1EEEEDaS16_S17_EUlS16_E_NS1_11comp_targetILNS1_3genE3ELNS1_11target_archE908ELNS1_3gpuE7ELNS1_3repE0EEENS1_30default_config_static_selectorELNS0_4arch9wavefront6targetE0EEEvT1_,comdat
.Lfunc_end40:
	.size	_ZN7rocprim17ROCPRIM_400000_NS6detail17trampoline_kernelINS0_14default_configENS1_25partition_config_selectorILNS1_17partition_subalgoE5EiNS0_10empty_typeEbEEZZNS1_14partition_implILS5_5ELb0ES3_mN6thrust23THRUST_200600_302600_NS17counting_iteratorIiNSA_11use_defaultESC_SC_EEPS6_NSA_18transform_iteratorINSA_8identityIiEENSA_6detail15normal_iteratorINSA_10device_ptrIiEEEESC_SC_EENS0_5tupleIJSM_S6_EEENSO_IJSE_SE_EEES6_PlJS6_EEE10hipError_tPvRmT3_T4_T5_T6_T7_T9_mT8_P12ihipStream_tbDpT10_ENKUlT_T0_E_clISt17integral_constantIbLb0EES1A_IbLb1EEEEDaS16_S17_EUlS16_E_NS1_11comp_targetILNS1_3genE3ELNS1_11target_archE908ELNS1_3gpuE7ELNS1_3repE0EEENS1_30default_config_static_selectorELNS0_4arch9wavefront6targetE0EEEvT1_, .Lfunc_end40-_ZN7rocprim17ROCPRIM_400000_NS6detail17trampoline_kernelINS0_14default_configENS1_25partition_config_selectorILNS1_17partition_subalgoE5EiNS0_10empty_typeEbEEZZNS1_14partition_implILS5_5ELb0ES3_mN6thrust23THRUST_200600_302600_NS17counting_iteratorIiNSA_11use_defaultESC_SC_EEPS6_NSA_18transform_iteratorINSA_8identityIiEENSA_6detail15normal_iteratorINSA_10device_ptrIiEEEESC_SC_EENS0_5tupleIJSM_S6_EEENSO_IJSE_SE_EEES6_PlJS6_EEE10hipError_tPvRmT3_T4_T5_T6_T7_T9_mT8_P12ihipStream_tbDpT10_ENKUlT_T0_E_clISt17integral_constantIbLb0EES1A_IbLb1EEEEDaS16_S17_EUlS16_E_NS1_11comp_targetILNS1_3genE3ELNS1_11target_archE908ELNS1_3gpuE7ELNS1_3repE0EEENS1_30default_config_static_selectorELNS0_4arch9wavefront6targetE0EEEvT1_
                                        ; -- End function
	.set _ZN7rocprim17ROCPRIM_400000_NS6detail17trampoline_kernelINS0_14default_configENS1_25partition_config_selectorILNS1_17partition_subalgoE5EiNS0_10empty_typeEbEEZZNS1_14partition_implILS5_5ELb0ES3_mN6thrust23THRUST_200600_302600_NS17counting_iteratorIiNSA_11use_defaultESC_SC_EEPS6_NSA_18transform_iteratorINSA_8identityIiEENSA_6detail15normal_iteratorINSA_10device_ptrIiEEEESC_SC_EENS0_5tupleIJSM_S6_EEENSO_IJSE_SE_EEES6_PlJS6_EEE10hipError_tPvRmT3_T4_T5_T6_T7_T9_mT8_P12ihipStream_tbDpT10_ENKUlT_T0_E_clISt17integral_constantIbLb0EES1A_IbLb1EEEEDaS16_S17_EUlS16_E_NS1_11comp_targetILNS1_3genE3ELNS1_11target_archE908ELNS1_3gpuE7ELNS1_3repE0EEENS1_30default_config_static_selectorELNS0_4arch9wavefront6targetE0EEEvT1_.num_vgpr, 0
	.set _ZN7rocprim17ROCPRIM_400000_NS6detail17trampoline_kernelINS0_14default_configENS1_25partition_config_selectorILNS1_17partition_subalgoE5EiNS0_10empty_typeEbEEZZNS1_14partition_implILS5_5ELb0ES3_mN6thrust23THRUST_200600_302600_NS17counting_iteratorIiNSA_11use_defaultESC_SC_EEPS6_NSA_18transform_iteratorINSA_8identityIiEENSA_6detail15normal_iteratorINSA_10device_ptrIiEEEESC_SC_EENS0_5tupleIJSM_S6_EEENSO_IJSE_SE_EEES6_PlJS6_EEE10hipError_tPvRmT3_T4_T5_T6_T7_T9_mT8_P12ihipStream_tbDpT10_ENKUlT_T0_E_clISt17integral_constantIbLb0EES1A_IbLb1EEEEDaS16_S17_EUlS16_E_NS1_11comp_targetILNS1_3genE3ELNS1_11target_archE908ELNS1_3gpuE7ELNS1_3repE0EEENS1_30default_config_static_selectorELNS0_4arch9wavefront6targetE0EEEvT1_.num_agpr, 0
	.set _ZN7rocprim17ROCPRIM_400000_NS6detail17trampoline_kernelINS0_14default_configENS1_25partition_config_selectorILNS1_17partition_subalgoE5EiNS0_10empty_typeEbEEZZNS1_14partition_implILS5_5ELb0ES3_mN6thrust23THRUST_200600_302600_NS17counting_iteratorIiNSA_11use_defaultESC_SC_EEPS6_NSA_18transform_iteratorINSA_8identityIiEENSA_6detail15normal_iteratorINSA_10device_ptrIiEEEESC_SC_EENS0_5tupleIJSM_S6_EEENSO_IJSE_SE_EEES6_PlJS6_EEE10hipError_tPvRmT3_T4_T5_T6_T7_T9_mT8_P12ihipStream_tbDpT10_ENKUlT_T0_E_clISt17integral_constantIbLb0EES1A_IbLb1EEEEDaS16_S17_EUlS16_E_NS1_11comp_targetILNS1_3genE3ELNS1_11target_archE908ELNS1_3gpuE7ELNS1_3repE0EEENS1_30default_config_static_selectorELNS0_4arch9wavefront6targetE0EEEvT1_.numbered_sgpr, 0
	.set _ZN7rocprim17ROCPRIM_400000_NS6detail17trampoline_kernelINS0_14default_configENS1_25partition_config_selectorILNS1_17partition_subalgoE5EiNS0_10empty_typeEbEEZZNS1_14partition_implILS5_5ELb0ES3_mN6thrust23THRUST_200600_302600_NS17counting_iteratorIiNSA_11use_defaultESC_SC_EEPS6_NSA_18transform_iteratorINSA_8identityIiEENSA_6detail15normal_iteratorINSA_10device_ptrIiEEEESC_SC_EENS0_5tupleIJSM_S6_EEENSO_IJSE_SE_EEES6_PlJS6_EEE10hipError_tPvRmT3_T4_T5_T6_T7_T9_mT8_P12ihipStream_tbDpT10_ENKUlT_T0_E_clISt17integral_constantIbLb0EES1A_IbLb1EEEEDaS16_S17_EUlS16_E_NS1_11comp_targetILNS1_3genE3ELNS1_11target_archE908ELNS1_3gpuE7ELNS1_3repE0EEENS1_30default_config_static_selectorELNS0_4arch9wavefront6targetE0EEEvT1_.num_named_barrier, 0
	.set _ZN7rocprim17ROCPRIM_400000_NS6detail17trampoline_kernelINS0_14default_configENS1_25partition_config_selectorILNS1_17partition_subalgoE5EiNS0_10empty_typeEbEEZZNS1_14partition_implILS5_5ELb0ES3_mN6thrust23THRUST_200600_302600_NS17counting_iteratorIiNSA_11use_defaultESC_SC_EEPS6_NSA_18transform_iteratorINSA_8identityIiEENSA_6detail15normal_iteratorINSA_10device_ptrIiEEEESC_SC_EENS0_5tupleIJSM_S6_EEENSO_IJSE_SE_EEES6_PlJS6_EEE10hipError_tPvRmT3_T4_T5_T6_T7_T9_mT8_P12ihipStream_tbDpT10_ENKUlT_T0_E_clISt17integral_constantIbLb0EES1A_IbLb1EEEEDaS16_S17_EUlS16_E_NS1_11comp_targetILNS1_3genE3ELNS1_11target_archE908ELNS1_3gpuE7ELNS1_3repE0EEENS1_30default_config_static_selectorELNS0_4arch9wavefront6targetE0EEEvT1_.private_seg_size, 0
	.set _ZN7rocprim17ROCPRIM_400000_NS6detail17trampoline_kernelINS0_14default_configENS1_25partition_config_selectorILNS1_17partition_subalgoE5EiNS0_10empty_typeEbEEZZNS1_14partition_implILS5_5ELb0ES3_mN6thrust23THRUST_200600_302600_NS17counting_iteratorIiNSA_11use_defaultESC_SC_EEPS6_NSA_18transform_iteratorINSA_8identityIiEENSA_6detail15normal_iteratorINSA_10device_ptrIiEEEESC_SC_EENS0_5tupleIJSM_S6_EEENSO_IJSE_SE_EEES6_PlJS6_EEE10hipError_tPvRmT3_T4_T5_T6_T7_T9_mT8_P12ihipStream_tbDpT10_ENKUlT_T0_E_clISt17integral_constantIbLb0EES1A_IbLb1EEEEDaS16_S17_EUlS16_E_NS1_11comp_targetILNS1_3genE3ELNS1_11target_archE908ELNS1_3gpuE7ELNS1_3repE0EEENS1_30default_config_static_selectorELNS0_4arch9wavefront6targetE0EEEvT1_.uses_vcc, 0
	.set _ZN7rocprim17ROCPRIM_400000_NS6detail17trampoline_kernelINS0_14default_configENS1_25partition_config_selectorILNS1_17partition_subalgoE5EiNS0_10empty_typeEbEEZZNS1_14partition_implILS5_5ELb0ES3_mN6thrust23THRUST_200600_302600_NS17counting_iteratorIiNSA_11use_defaultESC_SC_EEPS6_NSA_18transform_iteratorINSA_8identityIiEENSA_6detail15normal_iteratorINSA_10device_ptrIiEEEESC_SC_EENS0_5tupleIJSM_S6_EEENSO_IJSE_SE_EEES6_PlJS6_EEE10hipError_tPvRmT3_T4_T5_T6_T7_T9_mT8_P12ihipStream_tbDpT10_ENKUlT_T0_E_clISt17integral_constantIbLb0EES1A_IbLb1EEEEDaS16_S17_EUlS16_E_NS1_11comp_targetILNS1_3genE3ELNS1_11target_archE908ELNS1_3gpuE7ELNS1_3repE0EEENS1_30default_config_static_selectorELNS0_4arch9wavefront6targetE0EEEvT1_.uses_flat_scratch, 0
	.set _ZN7rocprim17ROCPRIM_400000_NS6detail17trampoline_kernelINS0_14default_configENS1_25partition_config_selectorILNS1_17partition_subalgoE5EiNS0_10empty_typeEbEEZZNS1_14partition_implILS5_5ELb0ES3_mN6thrust23THRUST_200600_302600_NS17counting_iteratorIiNSA_11use_defaultESC_SC_EEPS6_NSA_18transform_iteratorINSA_8identityIiEENSA_6detail15normal_iteratorINSA_10device_ptrIiEEEESC_SC_EENS0_5tupleIJSM_S6_EEENSO_IJSE_SE_EEES6_PlJS6_EEE10hipError_tPvRmT3_T4_T5_T6_T7_T9_mT8_P12ihipStream_tbDpT10_ENKUlT_T0_E_clISt17integral_constantIbLb0EES1A_IbLb1EEEEDaS16_S17_EUlS16_E_NS1_11comp_targetILNS1_3genE3ELNS1_11target_archE908ELNS1_3gpuE7ELNS1_3repE0EEENS1_30default_config_static_selectorELNS0_4arch9wavefront6targetE0EEEvT1_.has_dyn_sized_stack, 0
	.set _ZN7rocprim17ROCPRIM_400000_NS6detail17trampoline_kernelINS0_14default_configENS1_25partition_config_selectorILNS1_17partition_subalgoE5EiNS0_10empty_typeEbEEZZNS1_14partition_implILS5_5ELb0ES3_mN6thrust23THRUST_200600_302600_NS17counting_iteratorIiNSA_11use_defaultESC_SC_EEPS6_NSA_18transform_iteratorINSA_8identityIiEENSA_6detail15normal_iteratorINSA_10device_ptrIiEEEESC_SC_EENS0_5tupleIJSM_S6_EEENSO_IJSE_SE_EEES6_PlJS6_EEE10hipError_tPvRmT3_T4_T5_T6_T7_T9_mT8_P12ihipStream_tbDpT10_ENKUlT_T0_E_clISt17integral_constantIbLb0EES1A_IbLb1EEEEDaS16_S17_EUlS16_E_NS1_11comp_targetILNS1_3genE3ELNS1_11target_archE908ELNS1_3gpuE7ELNS1_3repE0EEENS1_30default_config_static_selectorELNS0_4arch9wavefront6targetE0EEEvT1_.has_recursion, 0
	.set _ZN7rocprim17ROCPRIM_400000_NS6detail17trampoline_kernelINS0_14default_configENS1_25partition_config_selectorILNS1_17partition_subalgoE5EiNS0_10empty_typeEbEEZZNS1_14partition_implILS5_5ELb0ES3_mN6thrust23THRUST_200600_302600_NS17counting_iteratorIiNSA_11use_defaultESC_SC_EEPS6_NSA_18transform_iteratorINSA_8identityIiEENSA_6detail15normal_iteratorINSA_10device_ptrIiEEEESC_SC_EENS0_5tupleIJSM_S6_EEENSO_IJSE_SE_EEES6_PlJS6_EEE10hipError_tPvRmT3_T4_T5_T6_T7_T9_mT8_P12ihipStream_tbDpT10_ENKUlT_T0_E_clISt17integral_constantIbLb0EES1A_IbLb1EEEEDaS16_S17_EUlS16_E_NS1_11comp_targetILNS1_3genE3ELNS1_11target_archE908ELNS1_3gpuE7ELNS1_3repE0EEENS1_30default_config_static_selectorELNS0_4arch9wavefront6targetE0EEEvT1_.has_indirect_call, 0
	.section	.AMDGPU.csdata,"",@progbits
; Kernel info:
; codeLenInByte = 0
; TotalNumSgprs: 0
; NumVgprs: 0
; ScratchSize: 0
; MemoryBound: 0
; FloatMode: 240
; IeeeMode: 1
; LDSByteSize: 0 bytes/workgroup (compile time only)
; SGPRBlocks: 0
; VGPRBlocks: 0
; NumSGPRsForWavesPerEU: 1
; NumVGPRsForWavesPerEU: 1
; Occupancy: 16
; WaveLimiterHint : 0
; COMPUTE_PGM_RSRC2:SCRATCH_EN: 0
; COMPUTE_PGM_RSRC2:USER_SGPR: 2
; COMPUTE_PGM_RSRC2:TRAP_HANDLER: 0
; COMPUTE_PGM_RSRC2:TGID_X_EN: 1
; COMPUTE_PGM_RSRC2:TGID_Y_EN: 0
; COMPUTE_PGM_RSRC2:TGID_Z_EN: 0
; COMPUTE_PGM_RSRC2:TIDIG_COMP_CNT: 0
	.section	.text._ZN7rocprim17ROCPRIM_400000_NS6detail17trampoline_kernelINS0_14default_configENS1_25partition_config_selectorILNS1_17partition_subalgoE5EiNS0_10empty_typeEbEEZZNS1_14partition_implILS5_5ELb0ES3_mN6thrust23THRUST_200600_302600_NS17counting_iteratorIiNSA_11use_defaultESC_SC_EEPS6_NSA_18transform_iteratorINSA_8identityIiEENSA_6detail15normal_iteratorINSA_10device_ptrIiEEEESC_SC_EENS0_5tupleIJSM_S6_EEENSO_IJSE_SE_EEES6_PlJS6_EEE10hipError_tPvRmT3_T4_T5_T6_T7_T9_mT8_P12ihipStream_tbDpT10_ENKUlT_T0_E_clISt17integral_constantIbLb0EES1A_IbLb1EEEEDaS16_S17_EUlS16_E_NS1_11comp_targetILNS1_3genE2ELNS1_11target_archE906ELNS1_3gpuE6ELNS1_3repE0EEENS1_30default_config_static_selectorELNS0_4arch9wavefront6targetE0EEEvT1_,"axG",@progbits,_ZN7rocprim17ROCPRIM_400000_NS6detail17trampoline_kernelINS0_14default_configENS1_25partition_config_selectorILNS1_17partition_subalgoE5EiNS0_10empty_typeEbEEZZNS1_14partition_implILS5_5ELb0ES3_mN6thrust23THRUST_200600_302600_NS17counting_iteratorIiNSA_11use_defaultESC_SC_EEPS6_NSA_18transform_iteratorINSA_8identityIiEENSA_6detail15normal_iteratorINSA_10device_ptrIiEEEESC_SC_EENS0_5tupleIJSM_S6_EEENSO_IJSE_SE_EEES6_PlJS6_EEE10hipError_tPvRmT3_T4_T5_T6_T7_T9_mT8_P12ihipStream_tbDpT10_ENKUlT_T0_E_clISt17integral_constantIbLb0EES1A_IbLb1EEEEDaS16_S17_EUlS16_E_NS1_11comp_targetILNS1_3genE2ELNS1_11target_archE906ELNS1_3gpuE6ELNS1_3repE0EEENS1_30default_config_static_selectorELNS0_4arch9wavefront6targetE0EEEvT1_,comdat
	.protected	_ZN7rocprim17ROCPRIM_400000_NS6detail17trampoline_kernelINS0_14default_configENS1_25partition_config_selectorILNS1_17partition_subalgoE5EiNS0_10empty_typeEbEEZZNS1_14partition_implILS5_5ELb0ES3_mN6thrust23THRUST_200600_302600_NS17counting_iteratorIiNSA_11use_defaultESC_SC_EEPS6_NSA_18transform_iteratorINSA_8identityIiEENSA_6detail15normal_iteratorINSA_10device_ptrIiEEEESC_SC_EENS0_5tupleIJSM_S6_EEENSO_IJSE_SE_EEES6_PlJS6_EEE10hipError_tPvRmT3_T4_T5_T6_T7_T9_mT8_P12ihipStream_tbDpT10_ENKUlT_T0_E_clISt17integral_constantIbLb0EES1A_IbLb1EEEEDaS16_S17_EUlS16_E_NS1_11comp_targetILNS1_3genE2ELNS1_11target_archE906ELNS1_3gpuE6ELNS1_3repE0EEENS1_30default_config_static_selectorELNS0_4arch9wavefront6targetE0EEEvT1_ ; -- Begin function _ZN7rocprim17ROCPRIM_400000_NS6detail17trampoline_kernelINS0_14default_configENS1_25partition_config_selectorILNS1_17partition_subalgoE5EiNS0_10empty_typeEbEEZZNS1_14partition_implILS5_5ELb0ES3_mN6thrust23THRUST_200600_302600_NS17counting_iteratorIiNSA_11use_defaultESC_SC_EEPS6_NSA_18transform_iteratorINSA_8identityIiEENSA_6detail15normal_iteratorINSA_10device_ptrIiEEEESC_SC_EENS0_5tupleIJSM_S6_EEENSO_IJSE_SE_EEES6_PlJS6_EEE10hipError_tPvRmT3_T4_T5_T6_T7_T9_mT8_P12ihipStream_tbDpT10_ENKUlT_T0_E_clISt17integral_constantIbLb0EES1A_IbLb1EEEEDaS16_S17_EUlS16_E_NS1_11comp_targetILNS1_3genE2ELNS1_11target_archE906ELNS1_3gpuE6ELNS1_3repE0EEENS1_30default_config_static_selectorELNS0_4arch9wavefront6targetE0EEEvT1_
	.globl	_ZN7rocprim17ROCPRIM_400000_NS6detail17trampoline_kernelINS0_14default_configENS1_25partition_config_selectorILNS1_17partition_subalgoE5EiNS0_10empty_typeEbEEZZNS1_14partition_implILS5_5ELb0ES3_mN6thrust23THRUST_200600_302600_NS17counting_iteratorIiNSA_11use_defaultESC_SC_EEPS6_NSA_18transform_iteratorINSA_8identityIiEENSA_6detail15normal_iteratorINSA_10device_ptrIiEEEESC_SC_EENS0_5tupleIJSM_S6_EEENSO_IJSE_SE_EEES6_PlJS6_EEE10hipError_tPvRmT3_T4_T5_T6_T7_T9_mT8_P12ihipStream_tbDpT10_ENKUlT_T0_E_clISt17integral_constantIbLb0EES1A_IbLb1EEEEDaS16_S17_EUlS16_E_NS1_11comp_targetILNS1_3genE2ELNS1_11target_archE906ELNS1_3gpuE6ELNS1_3repE0EEENS1_30default_config_static_selectorELNS0_4arch9wavefront6targetE0EEEvT1_
	.p2align	8
	.type	_ZN7rocprim17ROCPRIM_400000_NS6detail17trampoline_kernelINS0_14default_configENS1_25partition_config_selectorILNS1_17partition_subalgoE5EiNS0_10empty_typeEbEEZZNS1_14partition_implILS5_5ELb0ES3_mN6thrust23THRUST_200600_302600_NS17counting_iteratorIiNSA_11use_defaultESC_SC_EEPS6_NSA_18transform_iteratorINSA_8identityIiEENSA_6detail15normal_iteratorINSA_10device_ptrIiEEEESC_SC_EENS0_5tupleIJSM_S6_EEENSO_IJSE_SE_EEES6_PlJS6_EEE10hipError_tPvRmT3_T4_T5_T6_T7_T9_mT8_P12ihipStream_tbDpT10_ENKUlT_T0_E_clISt17integral_constantIbLb0EES1A_IbLb1EEEEDaS16_S17_EUlS16_E_NS1_11comp_targetILNS1_3genE2ELNS1_11target_archE906ELNS1_3gpuE6ELNS1_3repE0EEENS1_30default_config_static_selectorELNS0_4arch9wavefront6targetE0EEEvT1_,@function
_ZN7rocprim17ROCPRIM_400000_NS6detail17trampoline_kernelINS0_14default_configENS1_25partition_config_selectorILNS1_17partition_subalgoE5EiNS0_10empty_typeEbEEZZNS1_14partition_implILS5_5ELb0ES3_mN6thrust23THRUST_200600_302600_NS17counting_iteratorIiNSA_11use_defaultESC_SC_EEPS6_NSA_18transform_iteratorINSA_8identityIiEENSA_6detail15normal_iteratorINSA_10device_ptrIiEEEESC_SC_EENS0_5tupleIJSM_S6_EEENSO_IJSE_SE_EEES6_PlJS6_EEE10hipError_tPvRmT3_T4_T5_T6_T7_T9_mT8_P12ihipStream_tbDpT10_ENKUlT_T0_E_clISt17integral_constantIbLb0EES1A_IbLb1EEEEDaS16_S17_EUlS16_E_NS1_11comp_targetILNS1_3genE2ELNS1_11target_archE906ELNS1_3gpuE6ELNS1_3repE0EEENS1_30default_config_static_selectorELNS0_4arch9wavefront6targetE0EEEvT1_: ; @_ZN7rocprim17ROCPRIM_400000_NS6detail17trampoline_kernelINS0_14default_configENS1_25partition_config_selectorILNS1_17partition_subalgoE5EiNS0_10empty_typeEbEEZZNS1_14partition_implILS5_5ELb0ES3_mN6thrust23THRUST_200600_302600_NS17counting_iteratorIiNSA_11use_defaultESC_SC_EEPS6_NSA_18transform_iteratorINSA_8identityIiEENSA_6detail15normal_iteratorINSA_10device_ptrIiEEEESC_SC_EENS0_5tupleIJSM_S6_EEENSO_IJSE_SE_EEES6_PlJS6_EEE10hipError_tPvRmT3_T4_T5_T6_T7_T9_mT8_P12ihipStream_tbDpT10_ENKUlT_T0_E_clISt17integral_constantIbLb0EES1A_IbLb1EEEEDaS16_S17_EUlS16_E_NS1_11comp_targetILNS1_3genE2ELNS1_11target_archE906ELNS1_3gpuE6ELNS1_3repE0EEENS1_30default_config_static_selectorELNS0_4arch9wavefront6targetE0EEEvT1_
; %bb.0:
	.section	.rodata,"a",@progbits
	.p2align	6, 0x0
	.amdhsa_kernel _ZN7rocprim17ROCPRIM_400000_NS6detail17trampoline_kernelINS0_14default_configENS1_25partition_config_selectorILNS1_17partition_subalgoE5EiNS0_10empty_typeEbEEZZNS1_14partition_implILS5_5ELb0ES3_mN6thrust23THRUST_200600_302600_NS17counting_iteratorIiNSA_11use_defaultESC_SC_EEPS6_NSA_18transform_iteratorINSA_8identityIiEENSA_6detail15normal_iteratorINSA_10device_ptrIiEEEESC_SC_EENS0_5tupleIJSM_S6_EEENSO_IJSE_SE_EEES6_PlJS6_EEE10hipError_tPvRmT3_T4_T5_T6_T7_T9_mT8_P12ihipStream_tbDpT10_ENKUlT_T0_E_clISt17integral_constantIbLb0EES1A_IbLb1EEEEDaS16_S17_EUlS16_E_NS1_11comp_targetILNS1_3genE2ELNS1_11target_archE906ELNS1_3gpuE6ELNS1_3repE0EEENS1_30default_config_static_selectorELNS0_4arch9wavefront6targetE0EEEvT1_
		.amdhsa_group_segment_fixed_size 0
		.amdhsa_private_segment_fixed_size 0
		.amdhsa_kernarg_size 136
		.amdhsa_user_sgpr_count 2
		.amdhsa_user_sgpr_dispatch_ptr 0
		.amdhsa_user_sgpr_queue_ptr 0
		.amdhsa_user_sgpr_kernarg_segment_ptr 1
		.amdhsa_user_sgpr_dispatch_id 0
		.amdhsa_user_sgpr_private_segment_size 0
		.amdhsa_wavefront_size32 1
		.amdhsa_uses_dynamic_stack 0
		.amdhsa_enable_private_segment 0
		.amdhsa_system_sgpr_workgroup_id_x 1
		.amdhsa_system_sgpr_workgroup_id_y 0
		.amdhsa_system_sgpr_workgroup_id_z 0
		.amdhsa_system_sgpr_workgroup_info 0
		.amdhsa_system_vgpr_workitem_id 0
		.amdhsa_next_free_vgpr 1
		.amdhsa_next_free_sgpr 1
		.amdhsa_reserve_vcc 0
		.amdhsa_float_round_mode_32 0
		.amdhsa_float_round_mode_16_64 0
		.amdhsa_float_denorm_mode_32 3
		.amdhsa_float_denorm_mode_16_64 3
		.amdhsa_fp16_overflow 0
		.amdhsa_workgroup_processor_mode 1
		.amdhsa_memory_ordered 1
		.amdhsa_forward_progress 1
		.amdhsa_inst_pref_size 0
		.amdhsa_round_robin_scheduling 0
		.amdhsa_exception_fp_ieee_invalid_op 0
		.amdhsa_exception_fp_denorm_src 0
		.amdhsa_exception_fp_ieee_div_zero 0
		.amdhsa_exception_fp_ieee_overflow 0
		.amdhsa_exception_fp_ieee_underflow 0
		.amdhsa_exception_fp_ieee_inexact 0
		.amdhsa_exception_int_div_zero 0
	.end_amdhsa_kernel
	.section	.text._ZN7rocprim17ROCPRIM_400000_NS6detail17trampoline_kernelINS0_14default_configENS1_25partition_config_selectorILNS1_17partition_subalgoE5EiNS0_10empty_typeEbEEZZNS1_14partition_implILS5_5ELb0ES3_mN6thrust23THRUST_200600_302600_NS17counting_iteratorIiNSA_11use_defaultESC_SC_EEPS6_NSA_18transform_iteratorINSA_8identityIiEENSA_6detail15normal_iteratorINSA_10device_ptrIiEEEESC_SC_EENS0_5tupleIJSM_S6_EEENSO_IJSE_SE_EEES6_PlJS6_EEE10hipError_tPvRmT3_T4_T5_T6_T7_T9_mT8_P12ihipStream_tbDpT10_ENKUlT_T0_E_clISt17integral_constantIbLb0EES1A_IbLb1EEEEDaS16_S17_EUlS16_E_NS1_11comp_targetILNS1_3genE2ELNS1_11target_archE906ELNS1_3gpuE6ELNS1_3repE0EEENS1_30default_config_static_selectorELNS0_4arch9wavefront6targetE0EEEvT1_,"axG",@progbits,_ZN7rocprim17ROCPRIM_400000_NS6detail17trampoline_kernelINS0_14default_configENS1_25partition_config_selectorILNS1_17partition_subalgoE5EiNS0_10empty_typeEbEEZZNS1_14partition_implILS5_5ELb0ES3_mN6thrust23THRUST_200600_302600_NS17counting_iteratorIiNSA_11use_defaultESC_SC_EEPS6_NSA_18transform_iteratorINSA_8identityIiEENSA_6detail15normal_iteratorINSA_10device_ptrIiEEEESC_SC_EENS0_5tupleIJSM_S6_EEENSO_IJSE_SE_EEES6_PlJS6_EEE10hipError_tPvRmT3_T4_T5_T6_T7_T9_mT8_P12ihipStream_tbDpT10_ENKUlT_T0_E_clISt17integral_constantIbLb0EES1A_IbLb1EEEEDaS16_S17_EUlS16_E_NS1_11comp_targetILNS1_3genE2ELNS1_11target_archE906ELNS1_3gpuE6ELNS1_3repE0EEENS1_30default_config_static_selectorELNS0_4arch9wavefront6targetE0EEEvT1_,comdat
.Lfunc_end41:
	.size	_ZN7rocprim17ROCPRIM_400000_NS6detail17trampoline_kernelINS0_14default_configENS1_25partition_config_selectorILNS1_17partition_subalgoE5EiNS0_10empty_typeEbEEZZNS1_14partition_implILS5_5ELb0ES3_mN6thrust23THRUST_200600_302600_NS17counting_iteratorIiNSA_11use_defaultESC_SC_EEPS6_NSA_18transform_iteratorINSA_8identityIiEENSA_6detail15normal_iteratorINSA_10device_ptrIiEEEESC_SC_EENS0_5tupleIJSM_S6_EEENSO_IJSE_SE_EEES6_PlJS6_EEE10hipError_tPvRmT3_T4_T5_T6_T7_T9_mT8_P12ihipStream_tbDpT10_ENKUlT_T0_E_clISt17integral_constantIbLb0EES1A_IbLb1EEEEDaS16_S17_EUlS16_E_NS1_11comp_targetILNS1_3genE2ELNS1_11target_archE906ELNS1_3gpuE6ELNS1_3repE0EEENS1_30default_config_static_selectorELNS0_4arch9wavefront6targetE0EEEvT1_, .Lfunc_end41-_ZN7rocprim17ROCPRIM_400000_NS6detail17trampoline_kernelINS0_14default_configENS1_25partition_config_selectorILNS1_17partition_subalgoE5EiNS0_10empty_typeEbEEZZNS1_14partition_implILS5_5ELb0ES3_mN6thrust23THRUST_200600_302600_NS17counting_iteratorIiNSA_11use_defaultESC_SC_EEPS6_NSA_18transform_iteratorINSA_8identityIiEENSA_6detail15normal_iteratorINSA_10device_ptrIiEEEESC_SC_EENS0_5tupleIJSM_S6_EEENSO_IJSE_SE_EEES6_PlJS6_EEE10hipError_tPvRmT3_T4_T5_T6_T7_T9_mT8_P12ihipStream_tbDpT10_ENKUlT_T0_E_clISt17integral_constantIbLb0EES1A_IbLb1EEEEDaS16_S17_EUlS16_E_NS1_11comp_targetILNS1_3genE2ELNS1_11target_archE906ELNS1_3gpuE6ELNS1_3repE0EEENS1_30default_config_static_selectorELNS0_4arch9wavefront6targetE0EEEvT1_
                                        ; -- End function
	.set _ZN7rocprim17ROCPRIM_400000_NS6detail17trampoline_kernelINS0_14default_configENS1_25partition_config_selectorILNS1_17partition_subalgoE5EiNS0_10empty_typeEbEEZZNS1_14partition_implILS5_5ELb0ES3_mN6thrust23THRUST_200600_302600_NS17counting_iteratorIiNSA_11use_defaultESC_SC_EEPS6_NSA_18transform_iteratorINSA_8identityIiEENSA_6detail15normal_iteratorINSA_10device_ptrIiEEEESC_SC_EENS0_5tupleIJSM_S6_EEENSO_IJSE_SE_EEES6_PlJS6_EEE10hipError_tPvRmT3_T4_T5_T6_T7_T9_mT8_P12ihipStream_tbDpT10_ENKUlT_T0_E_clISt17integral_constantIbLb0EES1A_IbLb1EEEEDaS16_S17_EUlS16_E_NS1_11comp_targetILNS1_3genE2ELNS1_11target_archE906ELNS1_3gpuE6ELNS1_3repE0EEENS1_30default_config_static_selectorELNS0_4arch9wavefront6targetE0EEEvT1_.num_vgpr, 0
	.set _ZN7rocprim17ROCPRIM_400000_NS6detail17trampoline_kernelINS0_14default_configENS1_25partition_config_selectorILNS1_17partition_subalgoE5EiNS0_10empty_typeEbEEZZNS1_14partition_implILS5_5ELb0ES3_mN6thrust23THRUST_200600_302600_NS17counting_iteratorIiNSA_11use_defaultESC_SC_EEPS6_NSA_18transform_iteratorINSA_8identityIiEENSA_6detail15normal_iteratorINSA_10device_ptrIiEEEESC_SC_EENS0_5tupleIJSM_S6_EEENSO_IJSE_SE_EEES6_PlJS6_EEE10hipError_tPvRmT3_T4_T5_T6_T7_T9_mT8_P12ihipStream_tbDpT10_ENKUlT_T0_E_clISt17integral_constantIbLb0EES1A_IbLb1EEEEDaS16_S17_EUlS16_E_NS1_11comp_targetILNS1_3genE2ELNS1_11target_archE906ELNS1_3gpuE6ELNS1_3repE0EEENS1_30default_config_static_selectorELNS0_4arch9wavefront6targetE0EEEvT1_.num_agpr, 0
	.set _ZN7rocprim17ROCPRIM_400000_NS6detail17trampoline_kernelINS0_14default_configENS1_25partition_config_selectorILNS1_17partition_subalgoE5EiNS0_10empty_typeEbEEZZNS1_14partition_implILS5_5ELb0ES3_mN6thrust23THRUST_200600_302600_NS17counting_iteratorIiNSA_11use_defaultESC_SC_EEPS6_NSA_18transform_iteratorINSA_8identityIiEENSA_6detail15normal_iteratorINSA_10device_ptrIiEEEESC_SC_EENS0_5tupleIJSM_S6_EEENSO_IJSE_SE_EEES6_PlJS6_EEE10hipError_tPvRmT3_T4_T5_T6_T7_T9_mT8_P12ihipStream_tbDpT10_ENKUlT_T0_E_clISt17integral_constantIbLb0EES1A_IbLb1EEEEDaS16_S17_EUlS16_E_NS1_11comp_targetILNS1_3genE2ELNS1_11target_archE906ELNS1_3gpuE6ELNS1_3repE0EEENS1_30default_config_static_selectorELNS0_4arch9wavefront6targetE0EEEvT1_.numbered_sgpr, 0
	.set _ZN7rocprim17ROCPRIM_400000_NS6detail17trampoline_kernelINS0_14default_configENS1_25partition_config_selectorILNS1_17partition_subalgoE5EiNS0_10empty_typeEbEEZZNS1_14partition_implILS5_5ELb0ES3_mN6thrust23THRUST_200600_302600_NS17counting_iteratorIiNSA_11use_defaultESC_SC_EEPS6_NSA_18transform_iteratorINSA_8identityIiEENSA_6detail15normal_iteratorINSA_10device_ptrIiEEEESC_SC_EENS0_5tupleIJSM_S6_EEENSO_IJSE_SE_EEES6_PlJS6_EEE10hipError_tPvRmT3_T4_T5_T6_T7_T9_mT8_P12ihipStream_tbDpT10_ENKUlT_T0_E_clISt17integral_constantIbLb0EES1A_IbLb1EEEEDaS16_S17_EUlS16_E_NS1_11comp_targetILNS1_3genE2ELNS1_11target_archE906ELNS1_3gpuE6ELNS1_3repE0EEENS1_30default_config_static_selectorELNS0_4arch9wavefront6targetE0EEEvT1_.num_named_barrier, 0
	.set _ZN7rocprim17ROCPRIM_400000_NS6detail17trampoline_kernelINS0_14default_configENS1_25partition_config_selectorILNS1_17partition_subalgoE5EiNS0_10empty_typeEbEEZZNS1_14partition_implILS5_5ELb0ES3_mN6thrust23THRUST_200600_302600_NS17counting_iteratorIiNSA_11use_defaultESC_SC_EEPS6_NSA_18transform_iteratorINSA_8identityIiEENSA_6detail15normal_iteratorINSA_10device_ptrIiEEEESC_SC_EENS0_5tupleIJSM_S6_EEENSO_IJSE_SE_EEES6_PlJS6_EEE10hipError_tPvRmT3_T4_T5_T6_T7_T9_mT8_P12ihipStream_tbDpT10_ENKUlT_T0_E_clISt17integral_constantIbLb0EES1A_IbLb1EEEEDaS16_S17_EUlS16_E_NS1_11comp_targetILNS1_3genE2ELNS1_11target_archE906ELNS1_3gpuE6ELNS1_3repE0EEENS1_30default_config_static_selectorELNS0_4arch9wavefront6targetE0EEEvT1_.private_seg_size, 0
	.set _ZN7rocprim17ROCPRIM_400000_NS6detail17trampoline_kernelINS0_14default_configENS1_25partition_config_selectorILNS1_17partition_subalgoE5EiNS0_10empty_typeEbEEZZNS1_14partition_implILS5_5ELb0ES3_mN6thrust23THRUST_200600_302600_NS17counting_iteratorIiNSA_11use_defaultESC_SC_EEPS6_NSA_18transform_iteratorINSA_8identityIiEENSA_6detail15normal_iteratorINSA_10device_ptrIiEEEESC_SC_EENS0_5tupleIJSM_S6_EEENSO_IJSE_SE_EEES6_PlJS6_EEE10hipError_tPvRmT3_T4_T5_T6_T7_T9_mT8_P12ihipStream_tbDpT10_ENKUlT_T0_E_clISt17integral_constantIbLb0EES1A_IbLb1EEEEDaS16_S17_EUlS16_E_NS1_11comp_targetILNS1_3genE2ELNS1_11target_archE906ELNS1_3gpuE6ELNS1_3repE0EEENS1_30default_config_static_selectorELNS0_4arch9wavefront6targetE0EEEvT1_.uses_vcc, 0
	.set _ZN7rocprim17ROCPRIM_400000_NS6detail17trampoline_kernelINS0_14default_configENS1_25partition_config_selectorILNS1_17partition_subalgoE5EiNS0_10empty_typeEbEEZZNS1_14partition_implILS5_5ELb0ES3_mN6thrust23THRUST_200600_302600_NS17counting_iteratorIiNSA_11use_defaultESC_SC_EEPS6_NSA_18transform_iteratorINSA_8identityIiEENSA_6detail15normal_iteratorINSA_10device_ptrIiEEEESC_SC_EENS0_5tupleIJSM_S6_EEENSO_IJSE_SE_EEES6_PlJS6_EEE10hipError_tPvRmT3_T4_T5_T6_T7_T9_mT8_P12ihipStream_tbDpT10_ENKUlT_T0_E_clISt17integral_constantIbLb0EES1A_IbLb1EEEEDaS16_S17_EUlS16_E_NS1_11comp_targetILNS1_3genE2ELNS1_11target_archE906ELNS1_3gpuE6ELNS1_3repE0EEENS1_30default_config_static_selectorELNS0_4arch9wavefront6targetE0EEEvT1_.uses_flat_scratch, 0
	.set _ZN7rocprim17ROCPRIM_400000_NS6detail17trampoline_kernelINS0_14default_configENS1_25partition_config_selectorILNS1_17partition_subalgoE5EiNS0_10empty_typeEbEEZZNS1_14partition_implILS5_5ELb0ES3_mN6thrust23THRUST_200600_302600_NS17counting_iteratorIiNSA_11use_defaultESC_SC_EEPS6_NSA_18transform_iteratorINSA_8identityIiEENSA_6detail15normal_iteratorINSA_10device_ptrIiEEEESC_SC_EENS0_5tupleIJSM_S6_EEENSO_IJSE_SE_EEES6_PlJS6_EEE10hipError_tPvRmT3_T4_T5_T6_T7_T9_mT8_P12ihipStream_tbDpT10_ENKUlT_T0_E_clISt17integral_constantIbLb0EES1A_IbLb1EEEEDaS16_S17_EUlS16_E_NS1_11comp_targetILNS1_3genE2ELNS1_11target_archE906ELNS1_3gpuE6ELNS1_3repE0EEENS1_30default_config_static_selectorELNS0_4arch9wavefront6targetE0EEEvT1_.has_dyn_sized_stack, 0
	.set _ZN7rocprim17ROCPRIM_400000_NS6detail17trampoline_kernelINS0_14default_configENS1_25partition_config_selectorILNS1_17partition_subalgoE5EiNS0_10empty_typeEbEEZZNS1_14partition_implILS5_5ELb0ES3_mN6thrust23THRUST_200600_302600_NS17counting_iteratorIiNSA_11use_defaultESC_SC_EEPS6_NSA_18transform_iteratorINSA_8identityIiEENSA_6detail15normal_iteratorINSA_10device_ptrIiEEEESC_SC_EENS0_5tupleIJSM_S6_EEENSO_IJSE_SE_EEES6_PlJS6_EEE10hipError_tPvRmT3_T4_T5_T6_T7_T9_mT8_P12ihipStream_tbDpT10_ENKUlT_T0_E_clISt17integral_constantIbLb0EES1A_IbLb1EEEEDaS16_S17_EUlS16_E_NS1_11comp_targetILNS1_3genE2ELNS1_11target_archE906ELNS1_3gpuE6ELNS1_3repE0EEENS1_30default_config_static_selectorELNS0_4arch9wavefront6targetE0EEEvT1_.has_recursion, 0
	.set _ZN7rocprim17ROCPRIM_400000_NS6detail17trampoline_kernelINS0_14default_configENS1_25partition_config_selectorILNS1_17partition_subalgoE5EiNS0_10empty_typeEbEEZZNS1_14partition_implILS5_5ELb0ES3_mN6thrust23THRUST_200600_302600_NS17counting_iteratorIiNSA_11use_defaultESC_SC_EEPS6_NSA_18transform_iteratorINSA_8identityIiEENSA_6detail15normal_iteratorINSA_10device_ptrIiEEEESC_SC_EENS0_5tupleIJSM_S6_EEENSO_IJSE_SE_EEES6_PlJS6_EEE10hipError_tPvRmT3_T4_T5_T6_T7_T9_mT8_P12ihipStream_tbDpT10_ENKUlT_T0_E_clISt17integral_constantIbLb0EES1A_IbLb1EEEEDaS16_S17_EUlS16_E_NS1_11comp_targetILNS1_3genE2ELNS1_11target_archE906ELNS1_3gpuE6ELNS1_3repE0EEENS1_30default_config_static_selectorELNS0_4arch9wavefront6targetE0EEEvT1_.has_indirect_call, 0
	.section	.AMDGPU.csdata,"",@progbits
; Kernel info:
; codeLenInByte = 0
; TotalNumSgprs: 0
; NumVgprs: 0
; ScratchSize: 0
; MemoryBound: 0
; FloatMode: 240
; IeeeMode: 1
; LDSByteSize: 0 bytes/workgroup (compile time only)
; SGPRBlocks: 0
; VGPRBlocks: 0
; NumSGPRsForWavesPerEU: 1
; NumVGPRsForWavesPerEU: 1
; Occupancy: 16
; WaveLimiterHint : 0
; COMPUTE_PGM_RSRC2:SCRATCH_EN: 0
; COMPUTE_PGM_RSRC2:USER_SGPR: 2
; COMPUTE_PGM_RSRC2:TRAP_HANDLER: 0
; COMPUTE_PGM_RSRC2:TGID_X_EN: 1
; COMPUTE_PGM_RSRC2:TGID_Y_EN: 0
; COMPUTE_PGM_RSRC2:TGID_Z_EN: 0
; COMPUTE_PGM_RSRC2:TIDIG_COMP_CNT: 0
	.section	.text._ZN7rocprim17ROCPRIM_400000_NS6detail17trampoline_kernelINS0_14default_configENS1_25partition_config_selectorILNS1_17partition_subalgoE5EiNS0_10empty_typeEbEEZZNS1_14partition_implILS5_5ELb0ES3_mN6thrust23THRUST_200600_302600_NS17counting_iteratorIiNSA_11use_defaultESC_SC_EEPS6_NSA_18transform_iteratorINSA_8identityIiEENSA_6detail15normal_iteratorINSA_10device_ptrIiEEEESC_SC_EENS0_5tupleIJSM_S6_EEENSO_IJSE_SE_EEES6_PlJS6_EEE10hipError_tPvRmT3_T4_T5_T6_T7_T9_mT8_P12ihipStream_tbDpT10_ENKUlT_T0_E_clISt17integral_constantIbLb0EES1A_IbLb1EEEEDaS16_S17_EUlS16_E_NS1_11comp_targetILNS1_3genE10ELNS1_11target_archE1200ELNS1_3gpuE4ELNS1_3repE0EEENS1_30default_config_static_selectorELNS0_4arch9wavefront6targetE0EEEvT1_,"axG",@progbits,_ZN7rocprim17ROCPRIM_400000_NS6detail17trampoline_kernelINS0_14default_configENS1_25partition_config_selectorILNS1_17partition_subalgoE5EiNS0_10empty_typeEbEEZZNS1_14partition_implILS5_5ELb0ES3_mN6thrust23THRUST_200600_302600_NS17counting_iteratorIiNSA_11use_defaultESC_SC_EEPS6_NSA_18transform_iteratorINSA_8identityIiEENSA_6detail15normal_iteratorINSA_10device_ptrIiEEEESC_SC_EENS0_5tupleIJSM_S6_EEENSO_IJSE_SE_EEES6_PlJS6_EEE10hipError_tPvRmT3_T4_T5_T6_T7_T9_mT8_P12ihipStream_tbDpT10_ENKUlT_T0_E_clISt17integral_constantIbLb0EES1A_IbLb1EEEEDaS16_S17_EUlS16_E_NS1_11comp_targetILNS1_3genE10ELNS1_11target_archE1200ELNS1_3gpuE4ELNS1_3repE0EEENS1_30default_config_static_selectorELNS0_4arch9wavefront6targetE0EEEvT1_,comdat
	.protected	_ZN7rocprim17ROCPRIM_400000_NS6detail17trampoline_kernelINS0_14default_configENS1_25partition_config_selectorILNS1_17partition_subalgoE5EiNS0_10empty_typeEbEEZZNS1_14partition_implILS5_5ELb0ES3_mN6thrust23THRUST_200600_302600_NS17counting_iteratorIiNSA_11use_defaultESC_SC_EEPS6_NSA_18transform_iteratorINSA_8identityIiEENSA_6detail15normal_iteratorINSA_10device_ptrIiEEEESC_SC_EENS0_5tupleIJSM_S6_EEENSO_IJSE_SE_EEES6_PlJS6_EEE10hipError_tPvRmT3_T4_T5_T6_T7_T9_mT8_P12ihipStream_tbDpT10_ENKUlT_T0_E_clISt17integral_constantIbLb0EES1A_IbLb1EEEEDaS16_S17_EUlS16_E_NS1_11comp_targetILNS1_3genE10ELNS1_11target_archE1200ELNS1_3gpuE4ELNS1_3repE0EEENS1_30default_config_static_selectorELNS0_4arch9wavefront6targetE0EEEvT1_ ; -- Begin function _ZN7rocprim17ROCPRIM_400000_NS6detail17trampoline_kernelINS0_14default_configENS1_25partition_config_selectorILNS1_17partition_subalgoE5EiNS0_10empty_typeEbEEZZNS1_14partition_implILS5_5ELb0ES3_mN6thrust23THRUST_200600_302600_NS17counting_iteratorIiNSA_11use_defaultESC_SC_EEPS6_NSA_18transform_iteratorINSA_8identityIiEENSA_6detail15normal_iteratorINSA_10device_ptrIiEEEESC_SC_EENS0_5tupleIJSM_S6_EEENSO_IJSE_SE_EEES6_PlJS6_EEE10hipError_tPvRmT3_T4_T5_T6_T7_T9_mT8_P12ihipStream_tbDpT10_ENKUlT_T0_E_clISt17integral_constantIbLb0EES1A_IbLb1EEEEDaS16_S17_EUlS16_E_NS1_11comp_targetILNS1_3genE10ELNS1_11target_archE1200ELNS1_3gpuE4ELNS1_3repE0EEENS1_30default_config_static_selectorELNS0_4arch9wavefront6targetE0EEEvT1_
	.globl	_ZN7rocprim17ROCPRIM_400000_NS6detail17trampoline_kernelINS0_14default_configENS1_25partition_config_selectorILNS1_17partition_subalgoE5EiNS0_10empty_typeEbEEZZNS1_14partition_implILS5_5ELb0ES3_mN6thrust23THRUST_200600_302600_NS17counting_iteratorIiNSA_11use_defaultESC_SC_EEPS6_NSA_18transform_iteratorINSA_8identityIiEENSA_6detail15normal_iteratorINSA_10device_ptrIiEEEESC_SC_EENS0_5tupleIJSM_S6_EEENSO_IJSE_SE_EEES6_PlJS6_EEE10hipError_tPvRmT3_T4_T5_T6_T7_T9_mT8_P12ihipStream_tbDpT10_ENKUlT_T0_E_clISt17integral_constantIbLb0EES1A_IbLb1EEEEDaS16_S17_EUlS16_E_NS1_11comp_targetILNS1_3genE10ELNS1_11target_archE1200ELNS1_3gpuE4ELNS1_3repE0EEENS1_30default_config_static_selectorELNS0_4arch9wavefront6targetE0EEEvT1_
	.p2align	8
	.type	_ZN7rocprim17ROCPRIM_400000_NS6detail17trampoline_kernelINS0_14default_configENS1_25partition_config_selectorILNS1_17partition_subalgoE5EiNS0_10empty_typeEbEEZZNS1_14partition_implILS5_5ELb0ES3_mN6thrust23THRUST_200600_302600_NS17counting_iteratorIiNSA_11use_defaultESC_SC_EEPS6_NSA_18transform_iteratorINSA_8identityIiEENSA_6detail15normal_iteratorINSA_10device_ptrIiEEEESC_SC_EENS0_5tupleIJSM_S6_EEENSO_IJSE_SE_EEES6_PlJS6_EEE10hipError_tPvRmT3_T4_T5_T6_T7_T9_mT8_P12ihipStream_tbDpT10_ENKUlT_T0_E_clISt17integral_constantIbLb0EES1A_IbLb1EEEEDaS16_S17_EUlS16_E_NS1_11comp_targetILNS1_3genE10ELNS1_11target_archE1200ELNS1_3gpuE4ELNS1_3repE0EEENS1_30default_config_static_selectorELNS0_4arch9wavefront6targetE0EEEvT1_,@function
_ZN7rocprim17ROCPRIM_400000_NS6detail17trampoline_kernelINS0_14default_configENS1_25partition_config_selectorILNS1_17partition_subalgoE5EiNS0_10empty_typeEbEEZZNS1_14partition_implILS5_5ELb0ES3_mN6thrust23THRUST_200600_302600_NS17counting_iteratorIiNSA_11use_defaultESC_SC_EEPS6_NSA_18transform_iteratorINSA_8identityIiEENSA_6detail15normal_iteratorINSA_10device_ptrIiEEEESC_SC_EENS0_5tupleIJSM_S6_EEENSO_IJSE_SE_EEES6_PlJS6_EEE10hipError_tPvRmT3_T4_T5_T6_T7_T9_mT8_P12ihipStream_tbDpT10_ENKUlT_T0_E_clISt17integral_constantIbLb0EES1A_IbLb1EEEEDaS16_S17_EUlS16_E_NS1_11comp_targetILNS1_3genE10ELNS1_11target_archE1200ELNS1_3gpuE4ELNS1_3repE0EEENS1_30default_config_static_selectorELNS0_4arch9wavefront6targetE0EEEvT1_: ; @_ZN7rocprim17ROCPRIM_400000_NS6detail17trampoline_kernelINS0_14default_configENS1_25partition_config_selectorILNS1_17partition_subalgoE5EiNS0_10empty_typeEbEEZZNS1_14partition_implILS5_5ELb0ES3_mN6thrust23THRUST_200600_302600_NS17counting_iteratorIiNSA_11use_defaultESC_SC_EEPS6_NSA_18transform_iteratorINSA_8identityIiEENSA_6detail15normal_iteratorINSA_10device_ptrIiEEEESC_SC_EENS0_5tupleIJSM_S6_EEENSO_IJSE_SE_EEES6_PlJS6_EEE10hipError_tPvRmT3_T4_T5_T6_T7_T9_mT8_P12ihipStream_tbDpT10_ENKUlT_T0_E_clISt17integral_constantIbLb0EES1A_IbLb1EEEEDaS16_S17_EUlS16_E_NS1_11comp_targetILNS1_3genE10ELNS1_11target_archE1200ELNS1_3gpuE4ELNS1_3repE0EEENS1_30default_config_static_selectorELNS0_4arch9wavefront6targetE0EEEvT1_
; %bb.0:
	s_clause 0x4
	s_load_b64 s[12:13], s[0:1], 0x10
	s_load_b64 s[8:9], s[0:1], 0x30
	s_load_b64 s[16:17], s[0:1], 0x58
	s_load_b128 s[4:7], s[0:1], 0x48
	s_load_b64 s[10:11], s[0:1], 0x68
	v_cmp_eq_u32_e64 s2, 0, v0
	s_and_saveexec_b32 s3, s2
	s_cbranch_execz .LBB42_4
; %bb.1:
	s_mov_b32 s15, exec_lo
	s_mov_b32 s14, exec_lo
	v_mbcnt_lo_u32_b32 v1, s15, 0
                                        ; implicit-def: $vgpr2
	s_delay_alu instid0(VALU_DEP_1)
	v_cmpx_eq_u32_e32 0, v1
	s_cbranch_execz .LBB42_3
; %bb.2:
	s_load_b64 s[18:19], s[0:1], 0x78
	s_bcnt1_i32_b32 s15, s15
	s_wait_alu 0xfffe
	v_dual_mov_b32 v2, 0 :: v_dual_mov_b32 v3, s15
	s_wait_kmcnt 0x0
	global_atomic_add_u32 v2, v2, v3, s[18:19] th:TH_ATOMIC_RETURN scope:SCOPE_DEV
.LBB42_3:
	s_or_b32 exec_lo, exec_lo, s14
	s_wait_loadcnt 0x0
	v_readfirstlane_b32 s14, v2
	s_wait_alu 0xf1ff
	s_delay_alu instid0(VALU_DEP_1)
	v_dual_mov_b32 v2, 0 :: v_dual_add_nc_u32 v1, s14, v1
	ds_store_b32 v2, v1
.LBB42_4:
	s_or_b32 exec_lo, exec_lo, s3
	v_dual_mov_b32 v1, 0 :: v_dual_add_nc_u32 v6, 0x180, v0
	s_clause 0x2
	s_load_b32 s3, s[0:1], 0x8
	s_load_b64 s[14:15], s[0:1], 0x20
	s_load_b32 s0, s[0:1], 0x70
	s_wait_dscnt 0x0
	s_barrier_signal -1
	s_barrier_wait -1
	global_inv scope:SCOPE_SE
	ds_load_b32 v2, v1
	s_wait_loadcnt_dscnt 0x0
	s_barrier_signal -1
	s_barrier_wait -1
	global_inv scope:SCOPE_SE
	s_wait_kmcnt 0x0
	global_load_b64 v[9:10], v1, s[6:7]
	s_mov_b32 s7, 0
	v_lshrrev_b32_e32 v8, 3, v0
	v_lshlrev_b32_e32 v7, 2, v0
	v_add_nc_u32_e32 v5, 0x240, v0
	v_or_b32_e32 v4, 0x300, v0
	v_add_nc_u32_e32 v3, 0x3c0, v0
	v_add_nc_u32_e32 v1, 0x540, v0
	s_add_co_i32 s1, s3, s12
	s_mul_i32 s6, s0, 0x600
	s_add_co_i32 s19, s0, -1
	s_add_co_i32 s0, s6, s12
	s_add_nc_u64 s[6:7], s[12:13], s[6:7]
	s_sub_co_i32 s3, s16, s0
	v_readfirstlane_b32 s18, v2
	v_cmp_le_u64_e64 s0, s[16:17], s[6:7]
	s_addk_co_i32 s3, 0x600
	v_add_nc_u32_e32 v2, 0x480, v0
	s_mov_b32 s7, -1
	s_cmp_eq_u32 s18, s19
	s_mul_i32 s6, s18, 0x600
	s_cselect_b32 s16, -1, 0
	s_wait_alu 0xfffe
	s_and_b32 s0, s0, s16
	s_delay_alu instid0(SALU_CYCLE_1)
	s_xor_b32 s17, s0, -1
	s_wait_alu 0xfffe
	s_and_b32 vcc_lo, exec_lo, s17
	s_cbranch_vccz .LBB42_6
; %bb.5:
	v_add_nc_u32_e32 v12, 0xc0, v0
	v_lshrrev_b32_e32 v14, 3, v6
	v_lshrrev_b32_e32 v22, 3, v5
	v_lshrrev_b32_e32 v23, 3, v4
	v_and_b32_e32 v13, 28, v8
	v_lshrrev_b32_e32 v12, 3, v12
	v_lshrrev_b32_e32 v24, 3, v3
	;; [unrolled: 1-line block ×4, first 2 shown]
	v_add3_u32 v11, s6, s1, v0
	v_and_b32_e32 v12, 60, v12
	v_and_b32_e32 v14, 0x7c, v14
	;; [unrolled: 1-line block ×4, first 2 shown]
	v_add_nc_u32_e32 v13, v13, v7
	v_and_b32_e32 v24, 0xfc, v24
	v_and_b32_e32 v25, 0xbc, v25
	;; [unrolled: 1-line block ×3, first 2 shown]
	v_add_nc_u32_e32 v15, 0xc0, v11
	v_add_nc_u32_e32 v12, v12, v7
	;; [unrolled: 1-line block ×14, first 2 shown]
	ds_store_b32 v13, v11
	ds_store_b32 v12, v15 offset:768
	ds_store_b32 v14, v16 offset:1536
	;; [unrolled: 1-line block ×7, first 2 shown]
	s_wait_loadcnt_dscnt 0x0
	s_barrier_signal -1
	s_mov_b32 s7, 0
	s_barrier_wait -1
.LBB42_6:
	v_cmp_gt_u32_e64 s0, s3, v0
	s_wait_alu 0xfffe
	s_and_not1_b32 vcc_lo, exec_lo, s7
	s_cbranch_vccnz .LBB42_8
; %bb.7:
	s_add_co_i32 s1, s6, s1
	v_cmp_gt_u32_e32 vcc_lo, s3, v6
	s_wait_alu 0xfffe
	v_add_nc_u32_e32 v14, s1, v5
	v_add_nc_u32_e32 v11, 0xc0, v0
	;; [unrolled: 1-line block ×9, first 2 shown]
	v_lshrrev_b32_e32 v19, 3, v6
	v_cndmask_b32_e32 v13, 0, v13, vcc_lo
	v_cmp_gt_u32_e32 vcc_lo, s3, v11
	v_lshrrev_b32_e32 v21, 3, v5
	v_lshrrev_b32_e32 v22, 3, v4
	v_and_b32_e32 v8, 28, v8
	v_lshrrev_b32_e32 v23, 3, v3
	s_wait_alu 0xfffd
	v_cndmask_b32_e32 v15, 0, v15, vcc_lo
	v_cmp_gt_u32_e32 vcc_lo, s3, v5
	v_lshrrev_b32_e32 v24, 3, v2
	v_lshrrev_b32_e32 v25, 3, v1
	v_and_b32_e32 v19, 0x7c, v19
	s_wait_alu 0xfffd
	v_dual_cndmask_b32 v14, 0, v14 :: v_dual_and_b32 v21, 0x7c, v21
	v_cmp_gt_u32_e32 vcc_lo, s3, v4
	v_lshrrev_b32_e32 v11, 3, v11
	v_and_b32_e32 v22, 0x7c, v22
	v_cndmask_b32_e64 v12, 0, v12, s0
	v_add_nc_u32_e32 v8, v8, v7
	s_wait_alu 0xfffd
	v_cndmask_b32_e32 v16, 0, v16, vcc_lo
	v_cmp_gt_u32_e32 vcc_lo, s3, v3
	v_and_b32_e32 v11, 60, v11
	v_and_b32_e32 v23, 0xfc, v23
	;; [unrolled: 1-line block ×4, first 2 shown]
	s_wait_alu 0xfffd
	v_cndmask_b32_e32 v17, 0, v17, vcc_lo
	v_cmp_gt_u32_e32 vcc_lo, s3, v2
	v_add_nc_u32_e32 v11, v11, v7
	v_add_nc_u32_e32 v19, v19, v7
	;; [unrolled: 1-line block ×4, first 2 shown]
	s_wait_alu 0xfffd
	v_cndmask_b32_e32 v18, 0, v18, vcc_lo
	v_cmp_gt_u32_e32 vcc_lo, s3, v1
	v_add_nc_u32_e32 v23, v23, v7
	v_add_nc_u32_e32 v24, v24, v7
	s_wait_alu 0xfffd
	v_dual_cndmask_b32 v20, 0, v20 :: v_dual_add_nc_u32 v25, v25, v7
	ds_store_b32 v8, v12
	ds_store_b32 v11, v15 offset:768
	ds_store_b32 v19, v13 offset:1536
	;; [unrolled: 1-line block ×7, first 2 shown]
	s_wait_loadcnt_dscnt 0x0
	s_barrier_signal -1
	s_barrier_wait -1
.LBB42_8:
	v_and_b32_e32 v8, 0xfc, v0
	s_wait_loadcnt 0x0
	global_inv scope:SCOPE_SE
	s_lshl_b64 s[0:1], s[12:13], 2
	s_mov_b32 s7, 0
	v_lshrrev_b32_e32 v37, 5, v0
	v_lshl_add_u32 v8, v0, 5, v8
	s_wait_alu 0xfffe
	s_add_nc_u64 s[0:1], s[14:15], s[0:1]
	s_lshl_b64 s[6:7], s[6:7], 2
	s_and_b32 vcc_lo, exec_lo, s17
	s_wait_alu 0xfffe
	s_add_nc_u64 s[0:1], s[0:1], s[6:7]
	ds_load_2addr_b32 v[17:18], v8 offset1:1
	ds_load_2addr_b32 v[15:16], v8 offset0:2 offset1:3
	ds_load_2addr_b32 v[13:14], v8 offset0:4 offset1:5
	;; [unrolled: 1-line block ×3, first 2 shown]
	s_mov_b32 s6, -1
	s_wait_loadcnt_dscnt 0x0
	s_barrier_signal -1
	s_barrier_wait -1
	global_inv scope:SCOPE_SE
	s_cbranch_vccz .LBB42_10
; %bb.9:
	s_clause 0x7
	global_load_b32 v8, v7, s[0:1]
	global_load_b32 v19, v7, s[0:1] offset:768
	global_load_b32 v20, v7, s[0:1] offset:1536
	;; [unrolled: 1-line block ×7, first 2 shown]
	v_add_nc_u32_e32 v27, 0xc0, v0
	v_lshrrev_b32_e32 v28, 5, v6
	v_lshrrev_b32_e32 v29, 5, v5
	;; [unrolled: 1-line block ×3, first 2 shown]
	v_and_b32_e32 v26, 4, v37
	v_lshrrev_b32_e32 v27, 5, v27
	v_lshrrev_b32_e32 v31, 5, v3
	;; [unrolled: 1-line block ×4, first 2 shown]
	v_and_b32_e32 v28, 28, v28
	v_and_b32_e32 v27, 12, v27
	;; [unrolled: 1-line block ×4, first 2 shown]
	v_add_nc_u32_e32 v26, v26, v0
	v_and_b32_e32 v31, 60, v31
	v_and_b32_e32 v32, 44, v32
	v_and_b32_e32 v33, 60, v33
	v_add_nc_u32_e32 v27, v27, v0
	v_add_nc_u32_e32 v28, v28, v0
	;; [unrolled: 1-line block ×4, first 2 shown]
	s_mov_b32 s6, 0
	v_add_nc_u32_e32 v31, v31, v0
	v_add_nc_u32_e32 v32, v32, v0
	;; [unrolled: 1-line block ×3, first 2 shown]
	s_wait_loadcnt 0x7
	v_cmp_ne_u32_e32 vcc_lo, 0, v8
	s_wait_alu 0xfffd
	v_cndmask_b32_e64 v8, 0, 1, vcc_lo
	s_wait_loadcnt 0x6
	v_cmp_ne_u32_e32 vcc_lo, 0, v19
	s_wait_alu 0xfffd
	v_cndmask_b32_e64 v19, 0, 1, vcc_lo
	s_wait_loadcnt 0x5
	v_cmp_ne_u32_e32 vcc_lo, 0, v20
	s_wait_alu 0xfffd
	v_cndmask_b32_e64 v20, 0, 1, vcc_lo
	s_wait_loadcnt 0x4
	v_cmp_ne_u32_e32 vcc_lo, 0, v21
	s_wait_alu 0xfffd
	v_cndmask_b32_e64 v21, 0, 1, vcc_lo
	s_wait_loadcnt 0x3
	v_cmp_ne_u32_e32 vcc_lo, 0, v22
	s_wait_alu 0xfffd
	v_cndmask_b32_e64 v22, 0, 1, vcc_lo
	s_wait_loadcnt 0x2
	v_cmp_ne_u32_e32 vcc_lo, 0, v23
	s_wait_alu 0xfffd
	v_cndmask_b32_e64 v23, 0, 1, vcc_lo
	s_wait_loadcnt 0x1
	v_cmp_ne_u32_e32 vcc_lo, 0, v24
	s_wait_alu 0xfffd
	v_cndmask_b32_e64 v24, 0, 1, vcc_lo
	s_wait_loadcnt 0x0
	v_cmp_ne_u32_e32 vcc_lo, 0, v25
	s_wait_alu 0xfffd
	v_cndmask_b32_e64 v25, 0, 1, vcc_lo
	ds_store_b8 v26, v8
	ds_store_b8 v27, v19 offset:192
	ds_store_b8 v28, v20 offset:384
	;; [unrolled: 1-line block ×7, first 2 shown]
	s_wait_dscnt 0x0
	s_barrier_signal -1
	s_barrier_wait -1
.LBB42_10:
	v_lshlrev_b32_e32 v40, 3, v0
	v_lshrrev_b32_e32 v8, 2, v0
	s_wait_alu 0xfffe
	s_and_not1_b32 vcc_lo, exec_lo, s6
	s_wait_alu 0xfffe
	s_cbranch_vccnz .LBB42_22
; %bb.11:
	v_mov_b32_e32 v19, 0
	s_mov_b32 s7, 0
	s_mov_b32 s6, exec_lo
	s_delay_alu instid0(VALU_DEP_1)
	v_dual_mov_b32 v20, v19 :: v_dual_mov_b32 v21, v19
	v_cmpx_gt_u32_e64 s3, v0
	s_cbranch_execz .LBB42_13
; %bb.12:
	global_load_b32 v19, v7, s[0:1]
	s_wait_loadcnt 0x0
	v_cmp_ne_u32_e32 vcc_lo, 0, v19
	s_wait_alu 0xfffd
	v_cndmask_b32_e64 v19, 0, 1, vcc_lo
	s_wait_alu 0xfffe
	s_delay_alu instid0(VALU_DEP_1)
	v_dual_mov_b32 v20, s7 :: v_dual_mov_b32 v21, v19
.LBB42_13:
	s_wait_alu 0xfffe
	s_or_b32 exec_lo, exec_lo, s6
	v_add_nc_u32_e32 v22, 0xc0, v0
	s_mov_b32 s6, exec_lo
	s_delay_alu instid0(VALU_DEP_1)
	v_cmpx_gt_u32_e64 s3, v22
	s_cbranch_execnz .LBB42_152
; %bb.14:
	s_wait_alu 0xfffe
	s_or_b32 exec_lo, exec_lo, s6
	s_delay_alu instid0(SALU_CYCLE_1)
	s_mov_b32 s6, exec_lo
	v_cmpx_gt_u32_e64 s3, v6
	s_cbranch_execnz .LBB42_153
.LBB42_15:
	s_wait_alu 0xfffe
	s_or_b32 exec_lo, exec_lo, s6
	s_delay_alu instid0(SALU_CYCLE_1)
	s_mov_b32 s6, exec_lo
	v_cmpx_gt_u32_e64 s3, v5
	s_cbranch_execnz .LBB42_154
.LBB42_16:
	s_wait_alu 0xfffe
	s_or_b32 exec_lo, exec_lo, s6
	s_delay_alu instid0(SALU_CYCLE_1)
	s_mov_b32 s6, exec_lo
	v_cmpx_gt_u32_e64 s3, v4
	s_cbranch_execnz .LBB42_155
.LBB42_17:
	s_wait_alu 0xfffe
	s_or_b32 exec_lo, exec_lo, s6
	s_delay_alu instid0(SALU_CYCLE_1)
	s_mov_b32 s6, exec_lo
	v_cmpx_gt_u32_e64 s3, v3
	s_cbranch_execnz .LBB42_156
.LBB42_18:
	s_wait_alu 0xfffe
	s_or_b32 exec_lo, exec_lo, s6
	s_delay_alu instid0(SALU_CYCLE_1)
	s_mov_b32 s6, exec_lo
	v_cmpx_gt_u32_e64 s3, v2
	s_cbranch_execnz .LBB42_157
.LBB42_19:
	s_wait_alu 0xfffe
	s_or_b32 exec_lo, exec_lo, s6
	v_cmp_gt_u32_e32 vcc_lo, s3, v1
	s_and_saveexec_b32 s3, vcc_lo
	s_cbranch_execz .LBB42_21
.LBB42_20:
	global_load_b32 v7, v7, s[0:1] offset:5376
	v_lshrrev_b32_e32 v23, 16, v20
	s_delay_alu instid0(VALU_DEP_1) | instskip(SKIP_4) | instid1(VALU_DEP_1)
	v_and_b32_e32 v23, 0xff, v23
	s_wait_loadcnt 0x0
	v_cmp_ne_u32_e32 vcc_lo, 0, v7
	s_wait_alu 0xfffd
	v_cndmask_b32_e64 v7, 0, 1, vcc_lo
	v_lshlrev_b16 v7, 8, v7
	s_delay_alu instid0(VALU_DEP_1) | instskip(NEXT) | instid1(VALU_DEP_1)
	v_or_b32_e32 v7, v23, v7
	v_lshlrev_b32_e32 v7, 16, v7
	s_delay_alu instid0(VALU_DEP_1)
	v_and_or_b32 v20, 0xffff, v20, v7
.LBB42_21:
	s_wait_alu 0xfffe
	s_or_b32 exec_lo, exec_lo, s3
	v_lshrrev_b32_e32 v7, 5, v22
	v_lshrrev_b32_e32 v6, 5, v6
	v_lshrrev_b32_e32 v5, 5, v5
	v_lshrrev_b32_e32 v4, 5, v4
	v_and_b32_e32 v22, 4, v37
	v_lshrrev_b32_e32 v3, 5, v3
	v_lshrrev_b32_e32 v2, 5, v2
	;; [unrolled: 1-line block ×3, first 2 shown]
	v_and_b32_e32 v7, 12, v7
	v_and_b32_e32 v6, 28, v6
	;; [unrolled: 1-line block ×4, first 2 shown]
	v_add_nc_u32_e32 v22, v22, v0
	v_and_b32_e32 v3, 60, v3
	v_and_b32_e32 v2, 60, v2
	;; [unrolled: 1-line block ×3, first 2 shown]
	v_lshrrev_b32_e32 v23, 8, v19
	v_add_nc_u32_e32 v7, v7, v0
	v_add_nc_u32_e32 v6, v6, v0
	v_lshrrev_b32_e32 v24, 24, v19
	v_add_nc_u32_e32 v5, v5, v0
	v_add_nc_u32_e32 v4, v4, v0
	;; [unrolled: 3-line block ×3, first 2 shown]
	v_lshrrev_b32_e32 v26, 24, v20
	v_add_nc_u32_e32 v1, v1, v0
	ds_store_b8 v22, v21
	ds_store_b8 v7, v23 offset:192
	ds_store_b8_d16_hi v6, v19 offset:384
	ds_store_b8 v5, v24 offset:576
	ds_store_b8 v4, v20 offset:768
	;; [unrolled: 1-line block ×3, first 2 shown]
	ds_store_b8_d16_hi v2, v20 offset:1152
	ds_store_b8 v1, v26 offset:1344
	s_wait_loadcnt_dscnt 0x0
	s_barrier_signal -1
	s_barrier_wait -1
.LBB42_22:
	v_dual_mov_b32 v2, 0 :: v_dual_and_b32 v1, 60, v8
	s_wait_loadcnt 0x0
	global_inv scope:SCOPE_SE
	v_mbcnt_lo_u32_b32 v47, -1, 0
	s_cmp_lg_u32 s18, 0
	v_add_nc_u32_e32 v1, v1, v40
	s_mov_b32 s1, -1
	s_delay_alu instid0(VALU_DEP_2)
	v_and_b32_e32 v48, 15, v47
	ds_load_2addr_b32 v[19:20], v1 offset1:1
	s_wait_loadcnt_dscnt 0x0
	s_barrier_signal -1
	s_barrier_wait -1
	global_inv scope:SCOPE_SE
	v_and_b32_e32 v43, 0xff, v19
	v_bfe_u32 v42, v19, 8, 8
	v_bfe_u32 v41, v19, 16, 8
	v_lshrrev_b32_e32 v39, 24, v19
	v_and_b32_e32 v46, 0xff, v20
	v_bfe_u32 v45, v20, 8, 8
	v_bfe_u32 v44, v20, 16, 8
	v_add3_u32 v1, v42, v43, v41
	v_lshrrev_b32_e32 v38, 24, v20
	s_delay_alu instid0(VALU_DEP_2) | instskip(SKIP_3) | instid1(VALU_DEP_3)
	v_add_co_u32 v1, s0, v1, v39
	s_wait_alu 0xf1ff
	v_add_co_ci_u32_e64 v3, null, 0, 0, s0
	v_cmp_ne_u32_e64 s0, 0, v48
	v_add_co_u32 v1, vcc_lo, v1, v46
	s_wait_alu 0xfffd
	s_delay_alu instid0(VALU_DEP_3) | instskip(NEXT) | instid1(VALU_DEP_2)
	v_add_co_ci_u32_e64 v3, null, 0, v3, vcc_lo
	v_add_co_u32 v1, vcc_lo, v1, v45
	s_wait_alu 0xfffd
	s_delay_alu instid0(VALU_DEP_2) | instskip(NEXT) | instid1(VALU_DEP_2)
	v_add_co_ci_u32_e64 v3, null, 0, v3, vcc_lo
	v_add_co_u32 v1, vcc_lo, v1, v44
	s_wait_alu 0xfffd
	s_delay_alu instid0(VALU_DEP_2) | instskip(NEXT) | instid1(VALU_DEP_2)
	v_add_co_ci_u32_e64 v3, null, 0, v3, vcc_lo
	v_add_co_u32 v21, vcc_lo, v1, v38
	s_wait_alu 0xfffd
	s_delay_alu instid0(VALU_DEP_2)
	v_add_co_ci_u32_e64 v22, null, 0, v3, vcc_lo
	s_cbranch_scc0 .LBB42_79
; %bb.23:
	v_mov_b32_e32 v3, v21
	v_mov_b32_dpp v1, v21 row_shr:1 row_mask:0xf bank_mask:0xf
	v_mov_b32_dpp v6, v2 row_shr:1 row_mask:0xf bank_mask:0xf
	v_dual_mov_b32 v5, v21 :: v_dual_mov_b32 v4, v22
	s_and_saveexec_b32 s1, s0
; %bb.24:
	s_delay_alu instid0(VALU_DEP_3) | instskip(SKIP_2) | instid1(VALU_DEP_2)
	v_add_co_u32 v5, vcc_lo, v21, v1
	s_wait_alu 0xfffd
	v_add_co_ci_u32_e64 v2, null, 0, v22, vcc_lo
	v_add_co_u32 v1, vcc_lo, 0, v5
	s_wait_alu 0xfffd
	s_delay_alu instid0(VALU_DEP_2) | instskip(NEXT) | instid1(VALU_DEP_1)
	v_add_co_ci_u32_e64 v2, null, v6, v2, vcc_lo
	v_dual_mov_b32 v4, v2 :: v_dual_mov_b32 v3, v1
; %bb.25:
	s_wait_alu 0xfffe
	s_or_b32 exec_lo, exec_lo, s1
	v_mov_b32_dpp v1, v5 row_shr:2 row_mask:0xf bank_mask:0xf
	v_mov_b32_dpp v6, v2 row_shr:2 row_mask:0xf bank_mask:0xf
	s_mov_b32 s1, exec_lo
	v_cmpx_lt_u32_e32 1, v48
; %bb.26:
	s_delay_alu instid0(VALU_DEP_3) | instskip(SKIP_2) | instid1(VALU_DEP_2)
	v_add_co_u32 v5, vcc_lo, v3, v1
	s_wait_alu 0xfffd
	v_add_co_ci_u32_e64 v2, null, 0, v4, vcc_lo
	v_add_co_u32 v1, vcc_lo, 0, v5
	s_wait_alu 0xfffd
	s_delay_alu instid0(VALU_DEP_2) | instskip(NEXT) | instid1(VALU_DEP_1)
	v_add_co_ci_u32_e64 v2, null, v6, v2, vcc_lo
	v_dual_mov_b32 v4, v2 :: v_dual_mov_b32 v3, v1
; %bb.27:
	s_wait_alu 0xfffe
	s_or_b32 exec_lo, exec_lo, s1
	v_mov_b32_dpp v1, v5 row_shr:4 row_mask:0xf bank_mask:0xf
	v_mov_b32_dpp v6, v2 row_shr:4 row_mask:0xf bank_mask:0xf
	s_mov_b32 s1, exec_lo
	v_cmpx_lt_u32_e32 3, v48
	;; [unrolled: 17-line block ×3, first 2 shown]
; %bb.30:
	s_delay_alu instid0(VALU_DEP_3) | instskip(SKIP_2) | instid1(VALU_DEP_2)
	v_add_co_u32 v5, vcc_lo, v3, v6
	s_wait_alu 0xfffd
	v_add_co_ci_u32_e64 v2, null, 0, v4, vcc_lo
	v_add_co_u32 v3, vcc_lo, 0, v5
	s_wait_alu 0xfffd
	s_delay_alu instid0(VALU_DEP_2) | instskip(NEXT) | instid1(VALU_DEP_1)
	v_add_co_ci_u32_e64 v4, null, v1, v2, vcc_lo
	v_mov_b32_e32 v2, v4
; %bb.31:
	s_wait_alu 0xfffe
	s_or_b32 exec_lo, exec_lo, s1
	ds_swizzle_b32 v1, v5 offset:swizzle(BROADCAST,32,15)
	ds_swizzle_b32 v6, v2 offset:swizzle(BROADCAST,32,15)
	v_and_b32_e32 v7, 16, v47
	s_mov_b32 s1, exec_lo
	s_delay_alu instid0(VALU_DEP_1)
	v_cmpx_ne_u32_e32 0, v7
	s_cbranch_execz .LBB42_33
; %bb.32:
	s_wait_dscnt 0x1
	v_add_co_u32 v5, vcc_lo, v3, v1
	s_wait_alu 0xfffd
	v_add_co_ci_u32_e64 v2, null, 0, v4, vcc_lo
	s_delay_alu instid0(VALU_DEP_2) | instskip(SKIP_2) | instid1(VALU_DEP_2)
	v_add_co_u32 v1, vcc_lo, 0, v5
	s_wait_dscnt 0x0
	s_wait_alu 0xfffd
	v_add_co_ci_u32_e64 v2, null, v6, v2, vcc_lo
	s_delay_alu instid0(VALU_DEP_1)
	v_dual_mov_b32 v4, v2 :: v_dual_mov_b32 v3, v1
.LBB42_33:
	s_wait_alu 0xfffe
	s_or_b32 exec_lo, exec_lo, s1
	s_wait_dscnt 0x1
	v_and_b32_e32 v1, 0xe0, v0
	s_mov_b32 s1, exec_lo
	s_delay_alu instid0(VALU_DEP_1) | instskip(NEXT) | instid1(VALU_DEP_1)
	v_min_u32_e32 v1, 0xa0, v1
	v_or_b32_e32 v1, 31, v1
	s_delay_alu instid0(VALU_DEP_1)
	v_cmpx_eq_u32_e64 v0, v1
; %bb.34:
	v_lshlrev_b32_e32 v1, 3, v37
	ds_store_b64 v1, v[3:4]
; %bb.35:
	s_wait_alu 0xfffe
	s_or_b32 exec_lo, exec_lo, s1
	s_delay_alu instid0(SALU_CYCLE_1)
	s_mov_b32 s1, exec_lo
	s_wait_loadcnt_dscnt 0x0
	s_barrier_signal -1
	s_barrier_wait -1
	global_inv scope:SCOPE_SE
	v_cmpx_gt_u32_e32 6, v0
	s_cbranch_execz .LBB42_43
; %bb.36:
	ds_load_b64 v[3:4], v40
	v_and_b32_e32 v1, 7, v47
	s_mov_b32 s3, exec_lo
	s_wait_dscnt 0x0
	v_mov_b32_dpp v8, v3 row_shr:1 row_mask:0xf bank_mask:0xf
	v_mov_b32_dpp v7, v4 row_shr:1 row_mask:0xf bank_mask:0xf
	v_mov_b32_e32 v6, v3
	v_cmpx_ne_u32_e32 0, v1
; %bb.37:
	s_delay_alu instid0(VALU_DEP_4) | instskip(SKIP_2) | instid1(VALU_DEP_2)
	v_add_co_u32 v6, vcc_lo, v3, v8
	s_wait_alu 0xfffd
	v_add_co_ci_u32_e64 v4, null, 0, v4, vcc_lo
	v_add_co_u32 v3, vcc_lo, 0, v6
	s_wait_alu 0xfffd
	s_delay_alu instid0(VALU_DEP_2)
	v_add_co_ci_u32_e64 v4, null, v7, v4, vcc_lo
; %bb.38:
	s_wait_alu 0xfffe
	s_or_b32 exec_lo, exec_lo, s3
	v_mov_b32_dpp v8, v6 row_shr:2 row_mask:0xf bank_mask:0xf
	s_delay_alu instid0(VALU_DEP_2)
	v_mov_b32_dpp v7, v4 row_shr:2 row_mask:0xf bank_mask:0xf
	s_mov_b32 s3, exec_lo
	v_cmpx_lt_u32_e32 1, v1
; %bb.39:
	s_delay_alu instid0(VALU_DEP_3) | instskip(SKIP_2) | instid1(VALU_DEP_2)
	v_add_co_u32 v6, vcc_lo, v3, v8
	s_wait_alu 0xfffd
	v_add_co_ci_u32_e64 v4, null, 0, v4, vcc_lo
	v_add_co_u32 v3, vcc_lo, 0, v6
	s_wait_alu 0xfffd
	s_delay_alu instid0(VALU_DEP_2)
	v_add_co_ci_u32_e64 v4, null, v7, v4, vcc_lo
; %bb.40:
	s_wait_alu 0xfffe
	s_or_b32 exec_lo, exec_lo, s3
	v_mov_b32_dpp v7, v6 row_shr:4 row_mask:0xf bank_mask:0xf
	s_delay_alu instid0(VALU_DEP_2)
	v_mov_b32_dpp v6, v4 row_shr:4 row_mask:0xf bank_mask:0xf
	s_mov_b32 s3, exec_lo
	v_cmpx_lt_u32_e32 3, v1
; %bb.41:
	s_delay_alu instid0(VALU_DEP_3) | instskip(SKIP_2) | instid1(VALU_DEP_2)
	v_add_co_u32 v1, vcc_lo, v3, v7
	s_wait_alu 0xfffd
	v_add_co_ci_u32_e64 v4, null, 0, v4, vcc_lo
	v_add_co_u32 v3, vcc_lo, v1, 0
	s_wait_alu 0xfffd
	s_delay_alu instid0(VALU_DEP_2)
	v_add_co_ci_u32_e64 v4, null, v4, v6, vcc_lo
; %bb.42:
	s_wait_alu 0xfffe
	s_or_b32 exec_lo, exec_lo, s3
	ds_store_b64 v40, v[3:4]
.LBB42_43:
	s_wait_alu 0xfffe
	s_or_b32 exec_lo, exec_lo, s1
	s_delay_alu instid0(SALU_CYCLE_1)
	s_mov_b32 s3, exec_lo
	v_cmp_gt_u32_e32 vcc_lo, 32, v0
	s_wait_loadcnt_dscnt 0x0
	s_barrier_signal -1
	s_barrier_wait -1
	global_inv scope:SCOPE_SE
                                        ; implicit-def: $vgpr23_vgpr24
	v_cmpx_lt_u32_e32 31, v0
	s_cbranch_execz .LBB42_45
; %bb.44:
	v_lshl_add_u32 v1, v37, 3, -8
	ds_load_b64 v[23:24], v1
	s_wait_dscnt 0x0
	v_add_co_u32 v5, s1, v5, v23
	s_wait_alu 0xf1ff
	v_add_co_ci_u32_e64 v2, null, v2, v24, s1
.LBB42_45:
	s_wait_alu 0xfffe
	s_or_b32 exec_lo, exec_lo, s3
	v_sub_co_u32 v1, s1, v47, 1
	s_delay_alu instid0(VALU_DEP_1) | instskip(SKIP_1) | instid1(VALU_DEP_1)
	v_cmp_gt_i32_e64 s3, 0, v1
	s_wait_alu 0xf1ff
	v_cndmask_b32_e64 v1, v1, v47, s3
	s_delay_alu instid0(VALU_DEP_1)
	v_lshlrev_b32_e32 v1, 2, v1
	ds_bpermute_b32 v29, v1, v5
	ds_bpermute_b32 v30, v1, v2
	s_and_saveexec_b32 s3, vcc_lo
	s_cbranch_execz .LBB42_84
; %bb.46:
	v_mov_b32_e32 v4, 0
	ds_load_b64 v[1:2], v4 offset:40
	s_and_saveexec_b32 s6, s1
	s_cbranch_execz .LBB42_48
; %bb.47:
	s_add_co_i32 s12, s18, 32
	s_mov_b32 s13, 0
	s_delay_alu instid0(SALU_CYCLE_1) | instskip(NEXT) | instid1(SALU_CYCLE_1)
	s_lshl_b64 s[12:13], s[12:13], 4
	s_add_nc_u64 s[12:13], s[10:11], s[12:13]
	v_mov_b32_e32 v3, 1
	v_dual_mov_b32 v5, s12 :: v_dual_mov_b32 v6, s13
	s_wait_dscnt 0x0
	;;#ASMSTART
	global_store_b128 v[5:6], v[1:4] off scope:SCOPE_DEV	
s_wait_storecnt 0x0
	;;#ASMEND
.LBB42_48:
	s_wait_alu 0xfffe
	s_or_b32 exec_lo, exec_lo, s6
	v_xad_u32 v25, v47, -1, s18
	s_mov_b32 s7, 0
	s_mov_b32 s6, exec_lo
	s_delay_alu instid0(VALU_DEP_1) | instskip(NEXT) | instid1(VALU_DEP_1)
	v_add_nc_u32_e32 v3, 32, v25
	v_lshlrev_b64_e32 v[3:4], 4, v[3:4]
	s_delay_alu instid0(VALU_DEP_1) | instskip(SKIP_1) | instid1(VALU_DEP_2)
	v_add_co_u32 v3, vcc_lo, s10, v3
	s_wait_alu 0xfffd
	v_add_co_ci_u32_e64 v4, null, s11, v4, vcc_lo
	;;#ASMSTART
	global_load_b128 v[5:8], v[3:4] off scope:SCOPE_DEV	
s_wait_loadcnt 0x0
	;;#ASMEND
	v_and_b32_e32 v8, 0xff, v7
	s_delay_alu instid0(VALU_DEP_1)
	v_cmpx_eq_u16_e32 0, v8
	s_cbranch_execz .LBB42_51
.LBB42_49:                              ; =>This Inner Loop Header: Depth=1
	;;#ASMSTART
	global_load_b128 v[5:8], v[3:4] off scope:SCOPE_DEV	
s_wait_loadcnt 0x0
	;;#ASMEND
	v_and_b32_e32 v8, 0xff, v7
	s_delay_alu instid0(VALU_DEP_1)
	v_cmp_ne_u16_e32 vcc_lo, 0, v8
	s_wait_alu 0xfffe
	s_or_b32 s7, vcc_lo, s7
	s_wait_alu 0xfffe
	s_and_not1_b32 exec_lo, exec_lo, s7
	s_cbranch_execnz .LBB42_49
; %bb.50:
	s_or_b32 exec_lo, exec_lo, s7
.LBB42_51:
	s_wait_alu 0xfffe
	s_or_b32 exec_lo, exec_lo, s6
	v_cmp_ne_u32_e32 vcc_lo, 31, v47
	v_and_b32_e32 v4, 0xff, v7
	v_lshlrev_b32_e64 v32, v47, -1
	s_mov_b32 s6, exec_lo
	s_wait_alu 0xfffd
	v_add_co_ci_u32_e64 v3, null, 0, v47, vcc_lo
	v_cmp_eq_u16_e32 vcc_lo, 2, v4
	s_delay_alu instid0(VALU_DEP_2)
	v_dual_mov_b32 v4, v5 :: v_dual_lshlrev_b32 v31, 2, v3
	s_wait_alu 0xfffd
	v_and_or_b32 v3, vcc_lo, v32, 0x80000000
	ds_bpermute_b32 v26, v31, v5
	ds_bpermute_b32 v8, v31, v6
	v_ctz_i32_b32_e32 v3, v3
	s_delay_alu instid0(VALU_DEP_1)
	v_cmpx_lt_u32_e64 v47, v3
	s_cbranch_execz .LBB42_53
; %bb.52:
	s_wait_dscnt 0x1
	v_add_co_u32 v4, vcc_lo, v5, v26
	s_wait_alu 0xfffd
	v_add_co_ci_u32_e64 v6, null, 0, v6, vcc_lo
	s_delay_alu instid0(VALU_DEP_2) | instskip(SKIP_2) | instid1(VALU_DEP_2)
	v_add_co_u32 v5, vcc_lo, 0, v4
	s_wait_dscnt 0x0
	s_wait_alu 0xfffd
	v_add_co_ci_u32_e64 v6, null, v8, v6, vcc_lo
.LBB42_53:
	s_wait_alu 0xfffe
	s_or_b32 exec_lo, exec_lo, s6
	v_cmp_gt_u32_e32 vcc_lo, 30, v47
	v_add_nc_u32_e32 v34, 2, v47
	s_mov_b32 s6, exec_lo
	s_wait_dscnt 0x0
	s_wait_alu 0xfffd
	v_cndmask_b32_e64 v8, 0, 2, vcc_lo
	s_delay_alu instid0(VALU_DEP_1)
	v_add_lshl_u32 v33, v8, v47, 2
	ds_bpermute_b32 v26, v33, v4
	ds_bpermute_b32 v8, v33, v6
	v_cmpx_le_u32_e64 v34, v3
	s_cbranch_execz .LBB42_55
; %bb.54:
	s_wait_dscnt 0x1
	v_add_co_u32 v4, vcc_lo, v5, v26
	s_wait_alu 0xfffd
	v_add_co_ci_u32_e64 v6, null, 0, v6, vcc_lo
	s_delay_alu instid0(VALU_DEP_2) | instskip(SKIP_2) | instid1(VALU_DEP_2)
	v_add_co_u32 v5, vcc_lo, 0, v4
	s_wait_dscnt 0x0
	s_wait_alu 0xfffd
	v_add_co_ci_u32_e64 v6, null, v8, v6, vcc_lo
.LBB42_55:
	s_wait_alu 0xfffe
	s_or_b32 exec_lo, exec_lo, s6
	v_cmp_gt_u32_e32 vcc_lo, 28, v47
	v_add_nc_u32_e32 v36, 4, v47
	s_mov_b32 s6, exec_lo
	s_wait_dscnt 0x0
	s_wait_alu 0xfffd
	v_cndmask_b32_e64 v8, 0, 4, vcc_lo
	s_delay_alu instid0(VALU_DEP_1)
	v_add_lshl_u32 v35, v8, v47, 2
	ds_bpermute_b32 v26, v35, v4
	ds_bpermute_b32 v8, v35, v6
	v_cmpx_le_u32_e64 v36, v3
	;; [unrolled: 25-line block ×3, first 2 shown]
	s_cbranch_execz .LBB42_59
; %bb.58:
	s_wait_dscnt 0x1
	v_add_co_u32 v4, vcc_lo, v5, v26
	s_wait_alu 0xfffd
	v_add_co_ci_u32_e64 v6, null, 0, v6, vcc_lo
	s_delay_alu instid0(VALU_DEP_2) | instskip(SKIP_2) | instid1(VALU_DEP_2)
	v_add_co_u32 v5, vcc_lo, 0, v4
	s_wait_dscnt 0x0
	s_wait_alu 0xfffd
	v_add_co_ci_u32_e64 v6, null, v8, v6, vcc_lo
.LBB42_59:
	s_wait_alu 0xfffe
	s_or_b32 exec_lo, exec_lo, s6
	v_lshl_or_b32 v51, v47, 2, 64
	v_add_nc_u32_e32 v52, 16, v47
	s_mov_b32 s6, exec_lo
	s_wait_dscnt 0x0
	ds_bpermute_b32 v8, v51, v4
	ds_bpermute_b32 v4, v51, v6
	v_cmpx_le_u32_e64 v52, v3
	s_cbranch_execz .LBB42_61
; %bb.60:
	s_wait_dscnt 0x1
	v_add_co_u32 v3, vcc_lo, v5, v8
	s_wait_alu 0xfffd
	v_add_co_ci_u32_e64 v6, null, 0, v6, vcc_lo
	s_delay_alu instid0(VALU_DEP_2) | instskip(SKIP_2) | instid1(VALU_DEP_2)
	v_add_co_u32 v5, vcc_lo, v3, 0
	s_wait_dscnt 0x0
	s_wait_alu 0xfffd
	v_add_co_ci_u32_e64 v6, null, v6, v4, vcc_lo
.LBB42_61:
	s_wait_alu 0xfffe
	s_or_b32 exec_lo, exec_lo, s6
	v_mov_b32_e32 v26, 0
	s_branch .LBB42_64
.LBB42_62:                              ;   in Loop: Header=BB42_64 Depth=1
	s_wait_alu 0xfffe
	s_or_b32 exec_lo, exec_lo, s6
	v_add_co_u32 v5, vcc_lo, v5, v3
	v_subrev_nc_u32_e32 v25, 32, v25
	s_wait_alu 0xfffd
	v_add_co_ci_u32_e64 v6, null, v6, v4, vcc_lo
	s_mov_b32 s6, 0
.LBB42_63:                              ;   in Loop: Header=BB42_64 Depth=1
	s_wait_alu 0xfffe
	s_and_b32 vcc_lo, exec_lo, s6
	s_wait_alu 0xfffe
	s_cbranch_vccnz .LBB42_80
.LBB42_64:                              ; =>This Loop Header: Depth=1
                                        ;     Child Loop BB42_67 Depth 2
	v_and_b32_e32 v3, 0xff, v7
	s_mov_b32 s6, -1
	s_delay_alu instid0(VALU_DEP_1)
	v_cmp_ne_u16_e32 vcc_lo, 2, v3
	s_wait_dscnt 0x0
	v_dual_mov_b32 v3, v5 :: v_dual_mov_b32 v4, v6
                                        ; implicit-def: $vgpr5_vgpr6
	s_cmp_lg_u32 vcc_lo, exec_lo
	s_cbranch_scc1 .LBB42_63
; %bb.65:                               ;   in Loop: Header=BB42_64 Depth=1
	v_lshlrev_b64_e32 v[5:6], 4, v[25:26]
	s_mov_b32 s6, exec_lo
	s_delay_alu instid0(VALU_DEP_1) | instskip(SKIP_1) | instid1(VALU_DEP_2)
	v_add_co_u32 v27, vcc_lo, s10, v5
	s_wait_alu 0xfffd
	v_add_co_ci_u32_e64 v28, null, s11, v6, vcc_lo
	;;#ASMSTART
	global_load_b128 v[5:8], v[27:28] off scope:SCOPE_DEV	
s_wait_loadcnt 0x0
	;;#ASMEND
	v_and_b32_e32 v8, 0xff, v7
	s_delay_alu instid0(VALU_DEP_1)
	v_cmpx_eq_u16_e32 0, v8
	s_cbranch_execz .LBB42_69
; %bb.66:                               ;   in Loop: Header=BB42_64 Depth=1
	s_mov_b32 s7, 0
.LBB42_67:                              ;   Parent Loop BB42_64 Depth=1
                                        ; =>  This Inner Loop Header: Depth=2
	;;#ASMSTART
	global_load_b128 v[5:8], v[27:28] off scope:SCOPE_DEV	
s_wait_loadcnt 0x0
	;;#ASMEND
	v_and_b32_e32 v8, 0xff, v7
	s_delay_alu instid0(VALU_DEP_1)
	v_cmp_ne_u16_e32 vcc_lo, 0, v8
	s_wait_alu 0xfffe
	s_or_b32 s7, vcc_lo, s7
	s_wait_alu 0xfffe
	s_and_not1_b32 exec_lo, exec_lo, s7
	s_cbranch_execnz .LBB42_67
; %bb.68:                               ;   in Loop: Header=BB42_64 Depth=1
	s_or_b32 exec_lo, exec_lo, s7
.LBB42_69:                              ;   in Loop: Header=BB42_64 Depth=1
	s_wait_alu 0xfffe
	s_or_b32 exec_lo, exec_lo, s6
	v_dual_mov_b32 v27, v5 :: v_dual_and_b32 v8, 0xff, v7
	ds_bpermute_b32 v53, v31, v5
	ds_bpermute_b32 v28, v31, v6
	s_mov_b32 s6, exec_lo
	v_cmp_eq_u16_e32 vcc_lo, 2, v8
	s_wait_alu 0xfffd
	v_and_or_b32 v8, vcc_lo, v32, 0x80000000
	s_delay_alu instid0(VALU_DEP_1) | instskip(NEXT) | instid1(VALU_DEP_1)
	v_ctz_i32_b32_e32 v8, v8
	v_cmpx_lt_u32_e64 v47, v8
	s_cbranch_execz .LBB42_71
; %bb.70:                               ;   in Loop: Header=BB42_64 Depth=1
	s_wait_dscnt 0x1
	v_add_co_u32 v27, vcc_lo, v5, v53
	s_wait_alu 0xfffd
	v_add_co_ci_u32_e64 v6, null, 0, v6, vcc_lo
	s_delay_alu instid0(VALU_DEP_2) | instskip(SKIP_2) | instid1(VALU_DEP_2)
	v_add_co_u32 v5, vcc_lo, 0, v27
	s_wait_dscnt 0x0
	s_wait_alu 0xfffd
	v_add_co_ci_u32_e64 v6, null, v28, v6, vcc_lo
.LBB42_71:                              ;   in Loop: Header=BB42_64 Depth=1
	s_wait_alu 0xfffe
	s_or_b32 exec_lo, exec_lo, s6
	s_wait_dscnt 0x1
	ds_bpermute_b32 v53, v33, v27
	s_wait_dscnt 0x1
	ds_bpermute_b32 v28, v33, v6
	s_mov_b32 s6, exec_lo
	v_cmpx_le_u32_e64 v34, v8
	s_cbranch_execz .LBB42_73
; %bb.72:                               ;   in Loop: Header=BB42_64 Depth=1
	s_wait_dscnt 0x1
	v_add_co_u32 v27, vcc_lo, v5, v53
	s_wait_alu 0xfffd
	v_add_co_ci_u32_e64 v6, null, 0, v6, vcc_lo
	s_delay_alu instid0(VALU_DEP_2) | instskip(SKIP_2) | instid1(VALU_DEP_2)
	v_add_co_u32 v5, vcc_lo, 0, v27
	s_wait_dscnt 0x0
	s_wait_alu 0xfffd
	v_add_co_ci_u32_e64 v6, null, v28, v6, vcc_lo
.LBB42_73:                              ;   in Loop: Header=BB42_64 Depth=1
	s_wait_alu 0xfffe
	s_or_b32 exec_lo, exec_lo, s6
	s_wait_dscnt 0x1
	ds_bpermute_b32 v53, v35, v27
	s_wait_dscnt 0x1
	ds_bpermute_b32 v28, v35, v6
	s_mov_b32 s6, exec_lo
	v_cmpx_le_u32_e64 v36, v8
	;; [unrolled: 20-line block ×3, first 2 shown]
	s_cbranch_execz .LBB42_77
; %bb.76:                               ;   in Loop: Header=BB42_64 Depth=1
	s_wait_dscnt 0x1
	v_add_co_u32 v27, vcc_lo, v5, v53
	s_wait_alu 0xfffd
	v_add_co_ci_u32_e64 v6, null, 0, v6, vcc_lo
	s_delay_alu instid0(VALU_DEP_2) | instskip(SKIP_2) | instid1(VALU_DEP_2)
	v_add_co_u32 v5, vcc_lo, 0, v27
	s_wait_dscnt 0x0
	s_wait_alu 0xfffd
	v_add_co_ci_u32_e64 v6, null, v28, v6, vcc_lo
.LBB42_77:                              ;   in Loop: Header=BB42_64 Depth=1
	s_wait_alu 0xfffe
	s_or_b32 exec_lo, exec_lo, s6
	s_wait_dscnt 0x0
	ds_bpermute_b32 v28, v51, v27
	ds_bpermute_b32 v27, v51, v6
	s_mov_b32 s6, exec_lo
	v_cmpx_le_u32_e64 v52, v8
	s_cbranch_execz .LBB42_62
; %bb.78:                               ;   in Loop: Header=BB42_64 Depth=1
	s_wait_dscnt 0x1
	v_add_co_u32 v5, vcc_lo, v5, v28
	s_wait_alu 0xfffd
	v_add_co_ci_u32_e64 v6, null, 0, v6, vcc_lo
	s_delay_alu instid0(VALU_DEP_2) | instskip(SKIP_2) | instid1(VALU_DEP_2)
	v_add_co_u32 v5, vcc_lo, v5, 0
	s_wait_dscnt 0x0
	s_wait_alu 0xfffd
	v_add_co_ci_u32_e64 v6, null, v6, v27, vcc_lo
	s_branch .LBB42_62
.LBB42_79:
                                        ; implicit-def: $vgpr23_vgpr24
                                        ; implicit-def: $vgpr6_vgpr7
                                        ; implicit-def: $vgpr25_vgpr26
                                        ; implicit-def: $vgpr27_vgpr28
                                        ; implicit-def: $vgpr29_vgpr30
                                        ; implicit-def: $vgpr31_vgpr32
                                        ; implicit-def: $vgpr33_vgpr34
                                        ; implicit-def: $vgpr35_vgpr36
                                        ; implicit-def: $vgpr4_vgpr5
	s_wait_alu 0xfffe
	s_and_b32 vcc_lo, exec_lo, s1
	s_wait_alu 0xfffe
	s_cbranch_vccnz .LBB42_85
	s_branch .LBB42_110
.LBB42_80:
	s_and_saveexec_b32 s6, s1
	s_cbranch_execz .LBB42_82
; %bb.81:
	s_add_co_i32 s12, s18, 32
	s_mov_b32 s13, 0
	v_add_co_u32 v5, vcc_lo, v3, v1
	s_wait_alu 0xfffe
	s_lshl_b64 s[12:13], s[12:13], 4
	v_dual_mov_b32 v7, 2 :: v_dual_mov_b32 v8, 0
	s_wait_alu 0xfffe
	s_add_nc_u64 s[12:13], s[10:11], s[12:13]
	s_wait_alu 0xfffd
	v_add_co_ci_u32_e64 v6, null, v4, v2, vcc_lo
	s_wait_alu 0xfffe
	v_dual_mov_b32 v26, s13 :: v_dual_mov_b32 v25, s12
	;;#ASMSTART
	global_store_b128 v[25:26], v[5:8] off scope:SCOPE_DEV	
s_wait_storecnt 0x0
	;;#ASMEND
	ds_store_b128 v8, v[1:4] offset:6336
.LBB42_82:
	s_wait_alu 0xfffe
	s_or_b32 exec_lo, exec_lo, s6
	s_delay_alu instid0(SALU_CYCLE_1)
	s_and_b32 exec_lo, exec_lo, s2
; %bb.83:
	v_mov_b32_e32 v1, 0
	ds_store_b64 v1, v[3:4] offset:40
.LBB42_84:
	s_wait_alu 0xfffe
	s_or_b32 exec_lo, exec_lo, s3
	v_mov_b32_e32 v3, 0
	s_wait_loadcnt_dscnt 0x0
	s_barrier_signal -1
	s_barrier_wait -1
	global_inv scope:SCOPE_SE
	ds_load_b64 v[1:2], v3 offset:40
	v_cndmask_b32_e64 v4, v29, v23, s1
	v_cndmask_b32_e64 v5, v30, v24, s1
	s_wait_loadcnt_dscnt 0x0
	s_barrier_signal -1
	s_barrier_wait -1
	v_cndmask_b32_e64 v4, v4, 0, s2
	v_cndmask_b32_e64 v5, v5, 0, s2
	global_inv scope:SCOPE_SE
	v_add_co_u32 v35, vcc_lo, v1, v4
	s_wait_alu 0xfffd
	v_add_co_ci_u32_e64 v36, null, v2, v5, vcc_lo
	ds_load_b128 v[2:5], v3 offset:6336
	v_add_co_u32 v33, vcc_lo, v35, v43
	s_wait_alu 0xfffd
	v_add_co_ci_u32_e64 v34, null, 0, v36, vcc_lo
	s_delay_alu instid0(VALU_DEP_2) | instskip(SKIP_1) | instid1(VALU_DEP_2)
	v_add_co_u32 v31, vcc_lo, v33, v42
	s_wait_alu 0xfffd
	v_add_co_ci_u32_e64 v32, null, 0, v34, vcc_lo
	s_delay_alu instid0(VALU_DEP_2) | instskip(SKIP_1) | instid1(VALU_DEP_2)
	;; [unrolled: 4-line block ×6, first 2 shown]
	v_add_co_u32 v23, vcc_lo, v6, v44
	s_wait_alu 0xfffd
	v_add_co_ci_u32_e64 v24, null, 0, v7, vcc_lo
	s_branch .LBB42_110
.LBB42_85:
	s_wait_dscnt 0x0
	v_dual_mov_b32 v2, 0 :: v_dual_mov_b32 v3, v21
	v_mov_b32_dpp v4, v21 row_shr:1 row_mask:0xf bank_mask:0xf
	s_delay_alu instid0(VALU_DEP_2)
	v_mov_b32_dpp v1, v2 row_shr:1 row_mask:0xf bank_mask:0xf
	s_and_saveexec_b32 s1, s0
; %bb.86:
	s_delay_alu instid0(VALU_DEP_2) | instskip(SKIP_2) | instid1(VALU_DEP_2)
	v_add_co_u32 v3, vcc_lo, v21, v4
	s_wait_alu 0xfffd
	v_add_co_ci_u32_e64 v2, null, 0, v22, vcc_lo
	v_add_co_u32 v21, vcc_lo, 0, v3
	s_wait_alu 0xfffd
	s_delay_alu instid0(VALU_DEP_2) | instskip(NEXT) | instid1(VALU_DEP_1)
	v_add_co_ci_u32_e64 v22, null, v1, v2, vcc_lo
	v_mov_b32_e32 v2, v22
; %bb.87:
	s_wait_alu 0xfffe
	s_or_b32 exec_lo, exec_lo, s1
	v_mov_b32_dpp v1, v3 row_shr:2 row_mask:0xf bank_mask:0xf
	s_delay_alu instid0(VALU_DEP_2)
	v_mov_b32_dpp v4, v2 row_shr:2 row_mask:0xf bank_mask:0xf
	s_mov_b32 s0, exec_lo
	v_cmpx_lt_u32_e32 1, v48
; %bb.88:
	s_delay_alu instid0(VALU_DEP_3) | instskip(SKIP_2) | instid1(VALU_DEP_2)
	v_add_co_u32 v3, vcc_lo, v21, v1
	s_wait_alu 0xfffd
	v_add_co_ci_u32_e64 v2, null, 0, v22, vcc_lo
	v_add_co_u32 v1, vcc_lo, 0, v3
	s_wait_alu 0xfffd
	s_delay_alu instid0(VALU_DEP_2) | instskip(NEXT) | instid1(VALU_DEP_1)
	v_add_co_ci_u32_e64 v2, null, v4, v2, vcc_lo
	v_dual_mov_b32 v22, v2 :: v_dual_mov_b32 v21, v1
; %bb.89:
	s_wait_alu 0xfffe
	s_or_b32 exec_lo, exec_lo, s0
	v_mov_b32_dpp v1, v3 row_shr:4 row_mask:0xf bank_mask:0xf
	v_mov_b32_dpp v4, v2 row_shr:4 row_mask:0xf bank_mask:0xf
	s_mov_b32 s0, exec_lo
	v_cmpx_lt_u32_e32 3, v48
; %bb.90:
	s_delay_alu instid0(VALU_DEP_3) | instskip(SKIP_2) | instid1(VALU_DEP_2)
	v_add_co_u32 v3, vcc_lo, v21, v1
	s_wait_alu 0xfffd
	v_add_co_ci_u32_e64 v2, null, 0, v22, vcc_lo
	v_add_co_u32 v1, vcc_lo, 0, v3
	s_wait_alu 0xfffd
	s_delay_alu instid0(VALU_DEP_2) | instskip(NEXT) | instid1(VALU_DEP_1)
	v_add_co_ci_u32_e64 v2, null, v4, v2, vcc_lo
	v_dual_mov_b32 v22, v2 :: v_dual_mov_b32 v21, v1
; %bb.91:
	s_wait_alu 0xfffe
	s_or_b32 exec_lo, exec_lo, s0
	v_mov_b32_dpp v4, v3 row_shr:8 row_mask:0xf bank_mask:0xf
	v_mov_b32_dpp v1, v2 row_shr:8 row_mask:0xf bank_mask:0xf
	s_mov_b32 s0, exec_lo
	v_cmpx_lt_u32_e32 7, v48
; %bb.92:
	s_delay_alu instid0(VALU_DEP_3) | instskip(SKIP_2) | instid1(VALU_DEP_2)
	v_add_co_u32 v3, vcc_lo, v21, v4
	s_wait_alu 0xfffd
	v_add_co_ci_u32_e64 v2, null, 0, v22, vcc_lo
	v_add_co_u32 v21, vcc_lo, 0, v3
	s_wait_alu 0xfffd
	s_delay_alu instid0(VALU_DEP_2) | instskip(NEXT) | instid1(VALU_DEP_1)
	v_add_co_ci_u32_e64 v22, null, v1, v2, vcc_lo
	v_mov_b32_e32 v2, v22
; %bb.93:
	s_wait_alu 0xfffe
	s_or_b32 exec_lo, exec_lo, s0
	ds_swizzle_b32 v3, v3 offset:swizzle(BROADCAST,32,15)
	ds_swizzle_b32 v1, v2 offset:swizzle(BROADCAST,32,15)
	v_and_b32_e32 v2, 16, v47
	s_mov_b32 s0, exec_lo
	s_delay_alu instid0(VALU_DEP_1)
	v_cmpx_ne_u32_e32 0, v2
	s_cbranch_execz .LBB42_95
; %bb.94:
	s_wait_dscnt 0x1
	v_add_co_u32 v2, vcc_lo, v21, v3
	s_wait_alu 0xfffd
	v_add_co_ci_u32_e64 v3, null, 0, v22, vcc_lo
	s_delay_alu instid0(VALU_DEP_2) | instskip(SKIP_2) | instid1(VALU_DEP_2)
	v_add_co_u32 v21, vcc_lo, v2, 0
	s_wait_dscnt 0x0
	s_wait_alu 0xfffd
	v_add_co_ci_u32_e64 v22, null, v3, v1, vcc_lo
.LBB42_95:
	s_wait_alu 0xfffe
	s_or_b32 exec_lo, exec_lo, s0
	s_wait_dscnt 0x0
	v_and_b32_e32 v1, 0xe0, v0
	s_mov_b32 s0, exec_lo
	s_delay_alu instid0(VALU_DEP_1) | instskip(NEXT) | instid1(VALU_DEP_1)
	v_min_u32_e32 v1, 0xa0, v1
	v_or_b32_e32 v1, 31, v1
	s_delay_alu instid0(VALU_DEP_1)
	v_cmpx_eq_u32_e64 v0, v1
; %bb.96:
	v_lshlrev_b32_e32 v1, 3, v37
	ds_store_b64 v1, v[21:22]
; %bb.97:
	s_wait_alu 0xfffe
	s_or_b32 exec_lo, exec_lo, s0
	s_delay_alu instid0(SALU_CYCLE_1)
	s_mov_b32 s0, exec_lo
	s_wait_loadcnt_dscnt 0x0
	s_barrier_signal -1
	s_barrier_wait -1
	global_inv scope:SCOPE_SE
	v_cmpx_gt_u32_e32 6, v0
	s_cbranch_execz .LBB42_105
; %bb.98:
	ds_load_b64 v[1:2], v40
	v_and_b32_e32 v3, 7, v47
	s_mov_b32 s1, exec_lo
	s_wait_dscnt 0x0
	v_mov_b32_dpp v6, v1 row_shr:1 row_mask:0xf bank_mask:0xf
	v_mov_b32_dpp v5, v2 row_shr:1 row_mask:0xf bank_mask:0xf
	v_mov_b32_e32 v4, v1
	v_cmpx_ne_u32_e32 0, v3
; %bb.99:
	s_delay_alu instid0(VALU_DEP_4) | instskip(SKIP_2) | instid1(VALU_DEP_2)
	v_add_co_u32 v4, vcc_lo, v1, v6
	s_wait_alu 0xfffd
	v_add_co_ci_u32_e64 v2, null, 0, v2, vcc_lo
	v_add_co_u32 v1, vcc_lo, 0, v4
	s_wait_alu 0xfffd
	s_delay_alu instid0(VALU_DEP_2)
	v_add_co_ci_u32_e64 v2, null, v5, v2, vcc_lo
; %bb.100:
	s_wait_alu 0xfffe
	s_or_b32 exec_lo, exec_lo, s1
	v_mov_b32_dpp v6, v4 row_shr:2 row_mask:0xf bank_mask:0xf
	s_delay_alu instid0(VALU_DEP_2)
	v_mov_b32_dpp v5, v2 row_shr:2 row_mask:0xf bank_mask:0xf
	s_mov_b32 s1, exec_lo
	v_cmpx_lt_u32_e32 1, v3
; %bb.101:
	s_delay_alu instid0(VALU_DEP_3) | instskip(SKIP_2) | instid1(VALU_DEP_2)
	v_add_co_u32 v4, vcc_lo, v1, v6
	s_wait_alu 0xfffd
	v_add_co_ci_u32_e64 v2, null, 0, v2, vcc_lo
	v_add_co_u32 v1, vcc_lo, 0, v4
	s_wait_alu 0xfffd
	s_delay_alu instid0(VALU_DEP_2)
	v_add_co_ci_u32_e64 v2, null, v5, v2, vcc_lo
; %bb.102:
	s_wait_alu 0xfffe
	s_or_b32 exec_lo, exec_lo, s1
	v_mov_b32_dpp v5, v4 row_shr:4 row_mask:0xf bank_mask:0xf
	s_delay_alu instid0(VALU_DEP_2)
	v_mov_b32_dpp v4, v2 row_shr:4 row_mask:0xf bank_mask:0xf
	s_mov_b32 s1, exec_lo
	v_cmpx_lt_u32_e32 3, v3
; %bb.103:
	s_delay_alu instid0(VALU_DEP_3) | instskip(SKIP_2) | instid1(VALU_DEP_2)
	v_add_co_u32 v1, vcc_lo, v1, v5
	s_wait_alu 0xfffd
	v_add_co_ci_u32_e64 v2, null, 0, v2, vcc_lo
	v_add_co_u32 v1, vcc_lo, v1, 0
	s_wait_alu 0xfffd
	s_delay_alu instid0(VALU_DEP_2)
	v_add_co_ci_u32_e64 v2, null, v2, v4, vcc_lo
; %bb.104:
	s_wait_alu 0xfffe
	s_or_b32 exec_lo, exec_lo, s1
	ds_store_b64 v40, v[1:2]
.LBB42_105:
	s_wait_alu 0xfffe
	s_or_b32 exec_lo, exec_lo, s0
	v_mov_b32_e32 v6, 0
	v_mov_b32_e32 v7, 0
	s_mov_b32 s0, exec_lo
	s_wait_loadcnt_dscnt 0x0
	s_barrier_signal -1
	s_barrier_wait -1
	global_inv scope:SCOPE_SE
	v_cmpx_lt_u32_e32 31, v0
; %bb.106:
	v_lshl_add_u32 v1, v37, 3, -8
	ds_load_b64 v[6:7], v1
; %bb.107:
	s_wait_alu 0xfffe
	s_or_b32 exec_lo, exec_lo, s0
	v_sub_co_u32 v1, vcc_lo, v47, 1
	v_mov_b32_e32 v5, 0
	s_delay_alu instid0(VALU_DEP_2) | instskip(SKIP_1) | instid1(VALU_DEP_1)
	v_cmp_gt_i32_e64 s0, 0, v1
	s_wait_alu 0xf1ff
	v_cndmask_b32_e64 v1, v1, v47, s0
	s_delay_alu instid0(VALU_DEP_1)
	v_lshlrev_b32_e32 v2, 2, v1
	s_wait_dscnt 0x0
	v_add_co_u32 v1, s0, v6, v21
	s_wait_alu 0xf1ff
	v_add_co_ci_u32_e64 v3, null, v7, v22, s0
	ds_bpermute_b32 v1, v2, v1
	ds_bpermute_b32 v8, v2, v3
	ds_load_b64 v[2:3], v5 offset:40
	s_and_saveexec_b32 s0, s2
	s_cbranch_execz .LBB42_109
; %bb.108:
	s_add_nc_u64 s[6:7], s[10:11], 0x200
	v_mov_b32_e32 v4, 2
	s_wait_alu 0xfffe
	v_dual_mov_b32 v22, s7 :: v_dual_mov_b32 v21, s6
	s_wait_dscnt 0x0
	;;#ASMSTART
	global_store_b128 v[21:22], v[2:5] off scope:SCOPE_DEV	
s_wait_storecnt 0x0
	;;#ASMEND
.LBB42_109:
	s_wait_alu 0xfffe
	s_or_b32 exec_lo, exec_lo, s0
	s_wait_dscnt 0x1
	s_wait_alu 0xfffd
	v_dual_cndmask_b32 v1, v1, v6 :: v_dual_cndmask_b32 v4, v8, v7
	s_wait_loadcnt_dscnt 0x0
	s_barrier_signal -1
	s_barrier_wait -1
	s_delay_alu instid0(VALU_DEP_1)
	v_cndmask_b32_e64 v35, v1, 0, s2
	v_cndmask_b32_e64 v36, v4, 0, s2
	v_mov_b32_e32 v4, 0
	v_mov_b32_e32 v5, 0
	global_inv scope:SCOPE_SE
	v_add_co_u32 v33, vcc_lo, v35, v43
	s_wait_alu 0xfffd
	v_add_co_ci_u32_e64 v34, null, 0, v36, vcc_lo
	s_delay_alu instid0(VALU_DEP_2) | instskip(SKIP_1) | instid1(VALU_DEP_2)
	v_add_co_u32 v31, vcc_lo, v33, v42
	s_wait_alu 0xfffd
	v_add_co_ci_u32_e64 v32, null, 0, v34, vcc_lo
	s_delay_alu instid0(VALU_DEP_2) | instskip(SKIP_1) | instid1(VALU_DEP_2)
	;; [unrolled: 4-line block ×6, first 2 shown]
	v_add_co_u32 v23, vcc_lo, v6, v44
	s_wait_alu 0xfffd
	v_add_co_ci_u32_e64 v24, null, 0, v7, vcc_lo
.LBB42_110:
	v_lshrrev_b32_e32 v40, 8, v19
	v_lshrrev_b32_e32 v37, 16, v19
	v_and_b32_e32 v19, 1, v19
	s_wait_dscnt 0x0
	v_cmp_gt_u64_e32 vcc_lo, 0xc1, v[2:3]
	v_lshrrev_b32_e32 v8, 8, v20
	v_lshrrev_b32_e32 v1, 16, v20
	s_mov_b32 s1, -1
	v_cmp_eq_u32_e64 s0, 1, v19
	s_cbranch_vccnz .LBB42_114
; %bb.111:
	s_wait_alu 0xfffe
	s_and_b32 vcc_lo, exec_lo, s1
	s_wait_alu 0xfffe
	s_cbranch_vccnz .LBB42_131
.LBB42_112:
	s_and_b32 s0, s2, s16
	s_wait_alu 0xfffe
	s_and_saveexec_b32 s1, s0
	s_cbranch_execnz .LBB42_151
.LBB42_113:
	s_endpgm
.LBB42_114:
	v_add_co_u32 v21, vcc_lo, v4, v2
	s_wait_alu 0xfffd
	v_add_co_ci_u32_e64 v22, null, v5, v3, vcc_lo
	v_lshlrev_b64_e32 v[41:42], 2, v[9:10]
	s_delay_alu instid0(VALU_DEP_2) | instskip(NEXT) | instid1(VALU_DEP_2)
	v_cmp_lt_u64_e32 vcc_lo, v[35:36], v[21:22]
	v_add_co_u32 v41, s1, s8, v41
	s_wait_alu 0xf1fe
	s_delay_alu instid0(VALU_DEP_3)
	v_add_co_ci_u32_e64 v42, null, s9, v42, s1
	s_or_b32 s1, s17, vcc_lo
	s_wait_alu 0xfffe
	s_and_b32 s1, s1, s0
	s_wait_alu 0xfffe
	s_and_saveexec_b32 s0, s1
	s_cbranch_execz .LBB42_116
; %bb.115:
	v_lshlrev_b64_e32 v[43:44], 2, v[35:36]
	s_delay_alu instid0(VALU_DEP_1) | instskip(SKIP_1) | instid1(VALU_DEP_2)
	v_add_co_u32 v43, vcc_lo, v41, v43
	s_wait_alu 0xfffd
	v_add_co_ci_u32_e64 v44, null, v42, v44, vcc_lo
	global_store_b32 v[43:44], v17, off
.LBB42_116:
	s_wait_alu 0xfffe
	s_or_b32 exec_lo, exec_lo, s0
	v_and_b32_e32 v36, 1, v40
	v_cmp_lt_u64_e32 vcc_lo, v[33:34], v[21:22]
	s_delay_alu instid0(VALU_DEP_2)
	v_cmp_eq_u32_e64 s0, 1, v36
	s_or_b32 s1, s17, vcc_lo
	s_wait_alu 0xfffe
	s_and_b32 s1, s1, s0
	s_wait_alu 0xfffe
	s_and_saveexec_b32 s0, s1
	s_cbranch_execz .LBB42_118
; %bb.117:
	v_lshlrev_b64_e32 v[43:44], 2, v[33:34]
	s_delay_alu instid0(VALU_DEP_1) | instskip(SKIP_1) | instid1(VALU_DEP_2)
	v_add_co_u32 v43, vcc_lo, v41, v43
	s_wait_alu 0xfffd
	v_add_co_ci_u32_e64 v44, null, v42, v44, vcc_lo
	global_store_b32 v[43:44], v18, off
.LBB42_118:
	s_wait_alu 0xfffe
	s_or_b32 exec_lo, exec_lo, s0
	v_and_b32_e32 v34, 1, v37
	v_cmp_lt_u64_e32 vcc_lo, v[31:32], v[21:22]
	s_delay_alu instid0(VALU_DEP_2)
	v_cmp_eq_u32_e64 s0, 1, v34
	;; [unrolled: 20-line block ×7, first 2 shown]
	s_or_b32 s1, s17, vcc_lo
	s_wait_alu 0xfffe
	s_and_b32 s1, s1, s0
	s_wait_alu 0xfffe
	s_and_saveexec_b32 s0, s1
	s_cbranch_execz .LBB42_130
; %bb.129:
	v_lshlrev_b64_e32 v[21:22], 2, v[23:24]
	s_delay_alu instid0(VALU_DEP_1) | instskip(SKIP_1) | instid1(VALU_DEP_2)
	v_add_co_u32 v21, vcc_lo, v41, v21
	s_wait_alu 0xfffd
	v_add_co_ci_u32_e64 v22, null, v42, v22, vcc_lo
	global_store_b32 v[21:22], v12, off
.LBB42_130:
	s_wait_alu 0xfffe
	s_or_b32 exec_lo, exec_lo, s0
	s_branch .LBB42_112
.LBB42_131:
	s_mov_b32 s0, exec_lo
	v_cmpx_eq_u32_e32 1, v19
; %bb.132:
	v_sub_nc_u32_e32 v7, v35, v4
	s_delay_alu instid0(VALU_DEP_1)
	v_lshlrev_b32_e32 v7, 2, v7
	ds_store_b32 v7, v17
; %bb.133:
	s_wait_alu 0xfffe
	s_or_b32 exec_lo, exec_lo, s0
	v_and_b32_e32 v7, 1, v40
	s_mov_b32 s0, exec_lo
	s_delay_alu instid0(VALU_DEP_1)
	v_cmpx_eq_u32_e32 1, v7
; %bb.134:
	v_sub_nc_u32_e32 v7, v33, v4
	s_delay_alu instid0(VALU_DEP_1)
	v_lshlrev_b32_e32 v7, 2, v7
	ds_store_b32 v7, v18
; %bb.135:
	s_wait_alu 0xfffe
	s_or_b32 exec_lo, exec_lo, s0
	v_and_b32_e32 v7, 1, v37
	s_mov_b32 s0, exec_lo
	s_delay_alu instid0(VALU_DEP_1)
	;; [unrolled: 12-line block ×7, first 2 shown]
	v_cmpx_eq_u32_e32 1, v1
; %bb.146:
	v_sub_nc_u32_e32 v1, v23, v4
	s_delay_alu instid0(VALU_DEP_1)
	v_lshlrev_b32_e32 v1, 2, v1
	ds_store_b32 v1, v12
; %bb.147:
	s_wait_alu 0xfffe
	s_or_b32 exec_lo, exec_lo, s0
	v_mov_b32_e32 v1, 0
	s_mov_b32 s1, exec_lo
	s_wait_storecnt 0x0
	s_wait_loadcnt_dscnt 0x0
	s_barrier_signal -1
	s_barrier_wait -1
	global_inv scope:SCOPE_SE
	v_cmpx_gt_u64_e64 v[2:3], v[0:1]
	s_cbranch_execz .LBB42_150
; %bb.148:
	v_lshlrev_b64_e32 v[6:7], 2, v[4:5]
	v_lshlrev_b64_e32 v[11:12], 2, v[9:10]
	s_mov_b32 s3, 0
	s_delay_alu instid0(VALU_DEP_2) | instskip(SKIP_1) | instid1(VALU_DEP_3)
	v_add_co_u32 v8, vcc_lo, s8, v6
	s_wait_alu 0xfffd
	v_add_co_ci_u32_e64 v13, null, s9, v7, vcc_lo
	v_dual_mov_b32 v7, v1 :: v_dual_mov_b32 v6, v0
	s_delay_alu instid0(VALU_DEP_3) | instskip(SKIP_1) | instid1(VALU_DEP_3)
	v_add_co_u32 v8, vcc_lo, v8, v11
	s_wait_alu 0xfffd
	v_add_co_ci_u32_e64 v11, null, v13, v12, vcc_lo
	v_add_nc_u32_e32 v0, 0xc0, v0
.LBB42_149:                             ; =>This Inner Loop Header: Depth=1
	v_lshlrev_b32_e32 v12, 2, v6
	s_delay_alu instid0(VALU_DEP_2)
	v_cmp_le_u64_e32 vcc_lo, v[2:3], v[0:1]
	ds_load_b32 v14, v12
	v_lshlrev_b64_e32 v[12:13], 2, v[6:7]
	v_dual_mov_b32 v7, v1 :: v_dual_mov_b32 v6, v0
	v_add_nc_u32_e32 v0, 0xc0, v0
	s_wait_alu 0xfffe
	s_or_b32 s3, vcc_lo, s3
	s_delay_alu instid0(VALU_DEP_3)
	v_add_co_u32 v12, s0, v8, v12
	s_wait_alu 0xf1ff
	v_add_co_ci_u32_e64 v13, null, v11, v13, s0
	s_wait_dscnt 0x0
	global_store_b32 v[12:13], v14, off
	s_wait_alu 0xfffe
	s_and_not1_b32 exec_lo, exec_lo, s3
	s_cbranch_execnz .LBB42_149
.LBB42_150:
	s_wait_alu 0xfffe
	s_or_b32 exec_lo, exec_lo, s1
	s_and_b32 s0, s2, s16
	s_wait_alu 0xfffe
	s_and_saveexec_b32 s1, s0
	s_cbranch_execz .LBB42_113
.LBB42_151:
	v_add_co_u32 v0, vcc_lo, v4, v2
	s_wait_alu 0xfffd
	v_add_co_ci_u32_e64 v1, null, v5, v3, vcc_lo
	v_mov_b32_e32 v2, 0
	s_delay_alu instid0(VALU_DEP_3) | instskip(SKIP_1) | instid1(VALU_DEP_3)
	v_add_co_u32 v0, vcc_lo, v0, v9
	s_wait_alu 0xfffd
	v_add_co_ci_u32_e64 v1, null, v1, v10, vcc_lo
	global_store_b64 v2, v[0:1], s[4:5]
	s_endpgm
.LBB42_152:
	global_load_b32 v23, v7, s[0:1] offset:768
	v_and_b32_e32 v24, 0xff, v19
	s_wait_loadcnt 0x0
	v_cmp_ne_u32_e32 vcc_lo, 0, v23
	s_wait_alu 0xfffd
	v_cndmask_b32_e64 v23, 0, 1, vcc_lo
	s_delay_alu instid0(VALU_DEP_1) | instskip(NEXT) | instid1(VALU_DEP_1)
	v_lshlrev_b16 v23, 8, v23
	v_or_b32_e32 v23, v24, v23
	s_delay_alu instid0(VALU_DEP_1) | instskip(NEXT) | instid1(VALU_DEP_1)
	v_and_b32_e32 v23, 0xffff, v23
	v_and_or_b32 v19, 0xffff0000, v19, v23
	s_wait_alu 0xfffe
	s_or_b32 exec_lo, exec_lo, s6
	s_delay_alu instid0(SALU_CYCLE_1)
	s_mov_b32 s6, exec_lo
	v_cmpx_gt_u32_e64 s3, v6
	s_cbranch_execz .LBB42_15
.LBB42_153:
	global_load_b32 v23, v7, s[0:1] offset:1536
	v_lshrrev_b32_e32 v24, 16, v19
	s_delay_alu instid0(VALU_DEP_1) | instskip(SKIP_4) | instid1(VALU_DEP_1)
	v_and_b32_e32 v24, 0xffffff00, v24
	s_wait_loadcnt 0x0
	v_cmp_ne_u32_e32 vcc_lo, 0, v23
	s_wait_alu 0xfffd
	v_cndmask_b32_e64 v23, 0, 1, vcc_lo
	v_or_b32_e32 v23, v23, v24
	s_delay_alu instid0(VALU_DEP_1) | instskip(NEXT) | instid1(VALU_DEP_1)
	v_lshlrev_b32_e32 v23, 16, v23
	v_and_or_b32 v19, 0xffff, v19, v23
	s_wait_alu 0xfffe
	s_or_b32 exec_lo, exec_lo, s6
	s_delay_alu instid0(SALU_CYCLE_1)
	s_mov_b32 s6, exec_lo
	v_cmpx_gt_u32_e64 s3, v5
	s_cbranch_execz .LBB42_16
.LBB42_154:
	global_load_b32 v23, v7, s[0:1] offset:2304
	v_lshrrev_b32_e32 v24, 16, v19
	s_delay_alu instid0(VALU_DEP_1) | instskip(SKIP_4) | instid1(VALU_DEP_1)
	v_and_b32_e32 v24, 0xff, v24
	s_wait_loadcnt 0x0
	v_cmp_ne_u32_e32 vcc_lo, 0, v23
	s_wait_alu 0xfffd
	v_cndmask_b32_e64 v23, 0, 1, vcc_lo
	v_lshlrev_b16 v23, 8, v23
	s_delay_alu instid0(VALU_DEP_1) | instskip(NEXT) | instid1(VALU_DEP_1)
	v_or_b32_e32 v23, v24, v23
	v_lshlrev_b32_e32 v23, 16, v23
	s_delay_alu instid0(VALU_DEP_1) | instskip(SKIP_2) | instid1(SALU_CYCLE_1)
	v_and_or_b32 v19, 0xffff, v19, v23
	s_wait_alu 0xfffe
	s_or_b32 exec_lo, exec_lo, s6
	s_mov_b32 s6, exec_lo
	v_cmpx_gt_u32_e64 s3, v4
	s_cbranch_execz .LBB42_17
.LBB42_155:
	global_load_b32 v23, v7, s[0:1] offset:3072
	v_and_b32_e32 v24, 0xffffff00, v20
	s_wait_loadcnt 0x0
	v_cmp_ne_u32_e32 vcc_lo, 0, v23
	s_wait_alu 0xfffd
	v_cndmask_b32_e64 v23, 0, 1, vcc_lo
	s_delay_alu instid0(VALU_DEP_1) | instskip(NEXT) | instid1(VALU_DEP_1)
	v_or_b32_e32 v23, v23, v24
	v_and_b32_e32 v23, 0xffff, v23
	s_delay_alu instid0(VALU_DEP_1) | instskip(SKIP_2) | instid1(SALU_CYCLE_1)
	v_and_or_b32 v20, 0xffff0000, v20, v23
	s_wait_alu 0xfffe
	s_or_b32 exec_lo, exec_lo, s6
	s_mov_b32 s6, exec_lo
	v_cmpx_gt_u32_e64 s3, v3
	s_cbranch_execz .LBB42_18
.LBB42_156:
	global_load_b32 v23, v7, s[0:1] offset:3840
	v_and_b32_e32 v24, 0xff, v20
	s_wait_loadcnt 0x0
	v_cmp_ne_u32_e32 vcc_lo, 0, v23
	s_wait_alu 0xfffd
	v_cndmask_b32_e64 v23, 0, 1, vcc_lo
	s_delay_alu instid0(VALU_DEP_1) | instskip(NEXT) | instid1(VALU_DEP_1)
	v_lshlrev_b16 v23, 8, v23
	v_or_b32_e32 v23, v24, v23
	s_delay_alu instid0(VALU_DEP_1) | instskip(NEXT) | instid1(VALU_DEP_1)
	v_and_b32_e32 v23, 0xffff, v23
	v_and_or_b32 v20, 0xffff0000, v20, v23
	s_wait_alu 0xfffe
	s_or_b32 exec_lo, exec_lo, s6
	s_delay_alu instid0(SALU_CYCLE_1)
	s_mov_b32 s6, exec_lo
	v_cmpx_gt_u32_e64 s3, v2
	s_cbranch_execz .LBB42_19
.LBB42_157:
	global_load_b32 v23, v7, s[0:1] offset:4608
	v_lshrrev_b32_e32 v24, 16, v20
	s_delay_alu instid0(VALU_DEP_1) | instskip(SKIP_4) | instid1(VALU_DEP_1)
	v_and_b32_e32 v24, 0xffffff00, v24
	s_wait_loadcnt 0x0
	v_cmp_ne_u32_e32 vcc_lo, 0, v23
	s_wait_alu 0xfffd
	v_cndmask_b32_e64 v23, 0, 1, vcc_lo
	v_or_b32_e32 v23, v23, v24
	s_delay_alu instid0(VALU_DEP_1) | instskip(NEXT) | instid1(VALU_DEP_1)
	v_lshlrev_b32_e32 v23, 16, v23
	v_and_or_b32 v20, 0xffff, v20, v23
	s_wait_alu 0xfffe
	s_or_b32 exec_lo, exec_lo, s6
	v_cmp_gt_u32_e32 vcc_lo, s3, v1
	s_and_saveexec_b32 s3, vcc_lo
	s_cbranch_execnz .LBB42_20
	s_branch .LBB42_21
	.section	.rodata,"a",@progbits
	.p2align	6, 0x0
	.amdhsa_kernel _ZN7rocprim17ROCPRIM_400000_NS6detail17trampoline_kernelINS0_14default_configENS1_25partition_config_selectorILNS1_17partition_subalgoE5EiNS0_10empty_typeEbEEZZNS1_14partition_implILS5_5ELb0ES3_mN6thrust23THRUST_200600_302600_NS17counting_iteratorIiNSA_11use_defaultESC_SC_EEPS6_NSA_18transform_iteratorINSA_8identityIiEENSA_6detail15normal_iteratorINSA_10device_ptrIiEEEESC_SC_EENS0_5tupleIJSM_S6_EEENSO_IJSE_SE_EEES6_PlJS6_EEE10hipError_tPvRmT3_T4_T5_T6_T7_T9_mT8_P12ihipStream_tbDpT10_ENKUlT_T0_E_clISt17integral_constantIbLb0EES1A_IbLb1EEEEDaS16_S17_EUlS16_E_NS1_11comp_targetILNS1_3genE10ELNS1_11target_archE1200ELNS1_3gpuE4ELNS1_3repE0EEENS1_30default_config_static_selectorELNS0_4arch9wavefront6targetE0EEEvT1_
		.amdhsa_group_segment_fixed_size 6352
		.amdhsa_private_segment_fixed_size 0
		.amdhsa_kernarg_size 136
		.amdhsa_user_sgpr_count 2
		.amdhsa_user_sgpr_dispatch_ptr 0
		.amdhsa_user_sgpr_queue_ptr 0
		.amdhsa_user_sgpr_kernarg_segment_ptr 1
		.amdhsa_user_sgpr_dispatch_id 0
		.amdhsa_user_sgpr_private_segment_size 0
		.amdhsa_wavefront_size32 1
		.amdhsa_uses_dynamic_stack 0
		.amdhsa_enable_private_segment 0
		.amdhsa_system_sgpr_workgroup_id_x 1
		.amdhsa_system_sgpr_workgroup_id_y 0
		.amdhsa_system_sgpr_workgroup_id_z 0
		.amdhsa_system_sgpr_workgroup_info 0
		.amdhsa_system_vgpr_workitem_id 0
		.amdhsa_next_free_vgpr 54
		.amdhsa_next_free_sgpr 20
		.amdhsa_reserve_vcc 1
		.amdhsa_float_round_mode_32 0
		.amdhsa_float_round_mode_16_64 0
		.amdhsa_float_denorm_mode_32 3
		.amdhsa_float_denorm_mode_16_64 3
		.amdhsa_fp16_overflow 0
		.amdhsa_workgroup_processor_mode 1
		.amdhsa_memory_ordered 1
		.amdhsa_forward_progress 1
		.amdhsa_inst_pref_size 70
		.amdhsa_round_robin_scheduling 0
		.amdhsa_exception_fp_ieee_invalid_op 0
		.amdhsa_exception_fp_denorm_src 0
		.amdhsa_exception_fp_ieee_div_zero 0
		.amdhsa_exception_fp_ieee_overflow 0
		.amdhsa_exception_fp_ieee_underflow 0
		.amdhsa_exception_fp_ieee_inexact 0
		.amdhsa_exception_int_div_zero 0
	.end_amdhsa_kernel
	.section	.text._ZN7rocprim17ROCPRIM_400000_NS6detail17trampoline_kernelINS0_14default_configENS1_25partition_config_selectorILNS1_17partition_subalgoE5EiNS0_10empty_typeEbEEZZNS1_14partition_implILS5_5ELb0ES3_mN6thrust23THRUST_200600_302600_NS17counting_iteratorIiNSA_11use_defaultESC_SC_EEPS6_NSA_18transform_iteratorINSA_8identityIiEENSA_6detail15normal_iteratorINSA_10device_ptrIiEEEESC_SC_EENS0_5tupleIJSM_S6_EEENSO_IJSE_SE_EEES6_PlJS6_EEE10hipError_tPvRmT3_T4_T5_T6_T7_T9_mT8_P12ihipStream_tbDpT10_ENKUlT_T0_E_clISt17integral_constantIbLb0EES1A_IbLb1EEEEDaS16_S17_EUlS16_E_NS1_11comp_targetILNS1_3genE10ELNS1_11target_archE1200ELNS1_3gpuE4ELNS1_3repE0EEENS1_30default_config_static_selectorELNS0_4arch9wavefront6targetE0EEEvT1_,"axG",@progbits,_ZN7rocprim17ROCPRIM_400000_NS6detail17trampoline_kernelINS0_14default_configENS1_25partition_config_selectorILNS1_17partition_subalgoE5EiNS0_10empty_typeEbEEZZNS1_14partition_implILS5_5ELb0ES3_mN6thrust23THRUST_200600_302600_NS17counting_iteratorIiNSA_11use_defaultESC_SC_EEPS6_NSA_18transform_iteratorINSA_8identityIiEENSA_6detail15normal_iteratorINSA_10device_ptrIiEEEESC_SC_EENS0_5tupleIJSM_S6_EEENSO_IJSE_SE_EEES6_PlJS6_EEE10hipError_tPvRmT3_T4_T5_T6_T7_T9_mT8_P12ihipStream_tbDpT10_ENKUlT_T0_E_clISt17integral_constantIbLb0EES1A_IbLb1EEEEDaS16_S17_EUlS16_E_NS1_11comp_targetILNS1_3genE10ELNS1_11target_archE1200ELNS1_3gpuE4ELNS1_3repE0EEENS1_30default_config_static_selectorELNS0_4arch9wavefront6targetE0EEEvT1_,comdat
.Lfunc_end42:
	.size	_ZN7rocprim17ROCPRIM_400000_NS6detail17trampoline_kernelINS0_14default_configENS1_25partition_config_selectorILNS1_17partition_subalgoE5EiNS0_10empty_typeEbEEZZNS1_14partition_implILS5_5ELb0ES3_mN6thrust23THRUST_200600_302600_NS17counting_iteratorIiNSA_11use_defaultESC_SC_EEPS6_NSA_18transform_iteratorINSA_8identityIiEENSA_6detail15normal_iteratorINSA_10device_ptrIiEEEESC_SC_EENS0_5tupleIJSM_S6_EEENSO_IJSE_SE_EEES6_PlJS6_EEE10hipError_tPvRmT3_T4_T5_T6_T7_T9_mT8_P12ihipStream_tbDpT10_ENKUlT_T0_E_clISt17integral_constantIbLb0EES1A_IbLb1EEEEDaS16_S17_EUlS16_E_NS1_11comp_targetILNS1_3genE10ELNS1_11target_archE1200ELNS1_3gpuE4ELNS1_3repE0EEENS1_30default_config_static_selectorELNS0_4arch9wavefront6targetE0EEEvT1_, .Lfunc_end42-_ZN7rocprim17ROCPRIM_400000_NS6detail17trampoline_kernelINS0_14default_configENS1_25partition_config_selectorILNS1_17partition_subalgoE5EiNS0_10empty_typeEbEEZZNS1_14partition_implILS5_5ELb0ES3_mN6thrust23THRUST_200600_302600_NS17counting_iteratorIiNSA_11use_defaultESC_SC_EEPS6_NSA_18transform_iteratorINSA_8identityIiEENSA_6detail15normal_iteratorINSA_10device_ptrIiEEEESC_SC_EENS0_5tupleIJSM_S6_EEENSO_IJSE_SE_EEES6_PlJS6_EEE10hipError_tPvRmT3_T4_T5_T6_T7_T9_mT8_P12ihipStream_tbDpT10_ENKUlT_T0_E_clISt17integral_constantIbLb0EES1A_IbLb1EEEEDaS16_S17_EUlS16_E_NS1_11comp_targetILNS1_3genE10ELNS1_11target_archE1200ELNS1_3gpuE4ELNS1_3repE0EEENS1_30default_config_static_selectorELNS0_4arch9wavefront6targetE0EEEvT1_
                                        ; -- End function
	.set _ZN7rocprim17ROCPRIM_400000_NS6detail17trampoline_kernelINS0_14default_configENS1_25partition_config_selectorILNS1_17partition_subalgoE5EiNS0_10empty_typeEbEEZZNS1_14partition_implILS5_5ELb0ES3_mN6thrust23THRUST_200600_302600_NS17counting_iteratorIiNSA_11use_defaultESC_SC_EEPS6_NSA_18transform_iteratorINSA_8identityIiEENSA_6detail15normal_iteratorINSA_10device_ptrIiEEEESC_SC_EENS0_5tupleIJSM_S6_EEENSO_IJSE_SE_EEES6_PlJS6_EEE10hipError_tPvRmT3_T4_T5_T6_T7_T9_mT8_P12ihipStream_tbDpT10_ENKUlT_T0_E_clISt17integral_constantIbLb0EES1A_IbLb1EEEEDaS16_S17_EUlS16_E_NS1_11comp_targetILNS1_3genE10ELNS1_11target_archE1200ELNS1_3gpuE4ELNS1_3repE0EEENS1_30default_config_static_selectorELNS0_4arch9wavefront6targetE0EEEvT1_.num_vgpr, 54
	.set _ZN7rocprim17ROCPRIM_400000_NS6detail17trampoline_kernelINS0_14default_configENS1_25partition_config_selectorILNS1_17partition_subalgoE5EiNS0_10empty_typeEbEEZZNS1_14partition_implILS5_5ELb0ES3_mN6thrust23THRUST_200600_302600_NS17counting_iteratorIiNSA_11use_defaultESC_SC_EEPS6_NSA_18transform_iteratorINSA_8identityIiEENSA_6detail15normal_iteratorINSA_10device_ptrIiEEEESC_SC_EENS0_5tupleIJSM_S6_EEENSO_IJSE_SE_EEES6_PlJS6_EEE10hipError_tPvRmT3_T4_T5_T6_T7_T9_mT8_P12ihipStream_tbDpT10_ENKUlT_T0_E_clISt17integral_constantIbLb0EES1A_IbLb1EEEEDaS16_S17_EUlS16_E_NS1_11comp_targetILNS1_3genE10ELNS1_11target_archE1200ELNS1_3gpuE4ELNS1_3repE0EEENS1_30default_config_static_selectorELNS0_4arch9wavefront6targetE0EEEvT1_.num_agpr, 0
	.set _ZN7rocprim17ROCPRIM_400000_NS6detail17trampoline_kernelINS0_14default_configENS1_25partition_config_selectorILNS1_17partition_subalgoE5EiNS0_10empty_typeEbEEZZNS1_14partition_implILS5_5ELb0ES3_mN6thrust23THRUST_200600_302600_NS17counting_iteratorIiNSA_11use_defaultESC_SC_EEPS6_NSA_18transform_iteratorINSA_8identityIiEENSA_6detail15normal_iteratorINSA_10device_ptrIiEEEESC_SC_EENS0_5tupleIJSM_S6_EEENSO_IJSE_SE_EEES6_PlJS6_EEE10hipError_tPvRmT3_T4_T5_T6_T7_T9_mT8_P12ihipStream_tbDpT10_ENKUlT_T0_E_clISt17integral_constantIbLb0EES1A_IbLb1EEEEDaS16_S17_EUlS16_E_NS1_11comp_targetILNS1_3genE10ELNS1_11target_archE1200ELNS1_3gpuE4ELNS1_3repE0EEENS1_30default_config_static_selectorELNS0_4arch9wavefront6targetE0EEEvT1_.numbered_sgpr, 20
	.set _ZN7rocprim17ROCPRIM_400000_NS6detail17trampoline_kernelINS0_14default_configENS1_25partition_config_selectorILNS1_17partition_subalgoE5EiNS0_10empty_typeEbEEZZNS1_14partition_implILS5_5ELb0ES3_mN6thrust23THRUST_200600_302600_NS17counting_iteratorIiNSA_11use_defaultESC_SC_EEPS6_NSA_18transform_iteratorINSA_8identityIiEENSA_6detail15normal_iteratorINSA_10device_ptrIiEEEESC_SC_EENS0_5tupleIJSM_S6_EEENSO_IJSE_SE_EEES6_PlJS6_EEE10hipError_tPvRmT3_T4_T5_T6_T7_T9_mT8_P12ihipStream_tbDpT10_ENKUlT_T0_E_clISt17integral_constantIbLb0EES1A_IbLb1EEEEDaS16_S17_EUlS16_E_NS1_11comp_targetILNS1_3genE10ELNS1_11target_archE1200ELNS1_3gpuE4ELNS1_3repE0EEENS1_30default_config_static_selectorELNS0_4arch9wavefront6targetE0EEEvT1_.num_named_barrier, 0
	.set _ZN7rocprim17ROCPRIM_400000_NS6detail17trampoline_kernelINS0_14default_configENS1_25partition_config_selectorILNS1_17partition_subalgoE5EiNS0_10empty_typeEbEEZZNS1_14partition_implILS5_5ELb0ES3_mN6thrust23THRUST_200600_302600_NS17counting_iteratorIiNSA_11use_defaultESC_SC_EEPS6_NSA_18transform_iteratorINSA_8identityIiEENSA_6detail15normal_iteratorINSA_10device_ptrIiEEEESC_SC_EENS0_5tupleIJSM_S6_EEENSO_IJSE_SE_EEES6_PlJS6_EEE10hipError_tPvRmT3_T4_T5_T6_T7_T9_mT8_P12ihipStream_tbDpT10_ENKUlT_T0_E_clISt17integral_constantIbLb0EES1A_IbLb1EEEEDaS16_S17_EUlS16_E_NS1_11comp_targetILNS1_3genE10ELNS1_11target_archE1200ELNS1_3gpuE4ELNS1_3repE0EEENS1_30default_config_static_selectorELNS0_4arch9wavefront6targetE0EEEvT1_.private_seg_size, 0
	.set _ZN7rocprim17ROCPRIM_400000_NS6detail17trampoline_kernelINS0_14default_configENS1_25partition_config_selectorILNS1_17partition_subalgoE5EiNS0_10empty_typeEbEEZZNS1_14partition_implILS5_5ELb0ES3_mN6thrust23THRUST_200600_302600_NS17counting_iteratorIiNSA_11use_defaultESC_SC_EEPS6_NSA_18transform_iteratorINSA_8identityIiEENSA_6detail15normal_iteratorINSA_10device_ptrIiEEEESC_SC_EENS0_5tupleIJSM_S6_EEENSO_IJSE_SE_EEES6_PlJS6_EEE10hipError_tPvRmT3_T4_T5_T6_T7_T9_mT8_P12ihipStream_tbDpT10_ENKUlT_T0_E_clISt17integral_constantIbLb0EES1A_IbLb1EEEEDaS16_S17_EUlS16_E_NS1_11comp_targetILNS1_3genE10ELNS1_11target_archE1200ELNS1_3gpuE4ELNS1_3repE0EEENS1_30default_config_static_selectorELNS0_4arch9wavefront6targetE0EEEvT1_.uses_vcc, 1
	.set _ZN7rocprim17ROCPRIM_400000_NS6detail17trampoline_kernelINS0_14default_configENS1_25partition_config_selectorILNS1_17partition_subalgoE5EiNS0_10empty_typeEbEEZZNS1_14partition_implILS5_5ELb0ES3_mN6thrust23THRUST_200600_302600_NS17counting_iteratorIiNSA_11use_defaultESC_SC_EEPS6_NSA_18transform_iteratorINSA_8identityIiEENSA_6detail15normal_iteratorINSA_10device_ptrIiEEEESC_SC_EENS0_5tupleIJSM_S6_EEENSO_IJSE_SE_EEES6_PlJS6_EEE10hipError_tPvRmT3_T4_T5_T6_T7_T9_mT8_P12ihipStream_tbDpT10_ENKUlT_T0_E_clISt17integral_constantIbLb0EES1A_IbLb1EEEEDaS16_S17_EUlS16_E_NS1_11comp_targetILNS1_3genE10ELNS1_11target_archE1200ELNS1_3gpuE4ELNS1_3repE0EEENS1_30default_config_static_selectorELNS0_4arch9wavefront6targetE0EEEvT1_.uses_flat_scratch, 0
	.set _ZN7rocprim17ROCPRIM_400000_NS6detail17trampoline_kernelINS0_14default_configENS1_25partition_config_selectorILNS1_17partition_subalgoE5EiNS0_10empty_typeEbEEZZNS1_14partition_implILS5_5ELb0ES3_mN6thrust23THRUST_200600_302600_NS17counting_iteratorIiNSA_11use_defaultESC_SC_EEPS6_NSA_18transform_iteratorINSA_8identityIiEENSA_6detail15normal_iteratorINSA_10device_ptrIiEEEESC_SC_EENS0_5tupleIJSM_S6_EEENSO_IJSE_SE_EEES6_PlJS6_EEE10hipError_tPvRmT3_T4_T5_T6_T7_T9_mT8_P12ihipStream_tbDpT10_ENKUlT_T0_E_clISt17integral_constantIbLb0EES1A_IbLb1EEEEDaS16_S17_EUlS16_E_NS1_11comp_targetILNS1_3genE10ELNS1_11target_archE1200ELNS1_3gpuE4ELNS1_3repE0EEENS1_30default_config_static_selectorELNS0_4arch9wavefront6targetE0EEEvT1_.has_dyn_sized_stack, 0
	.set _ZN7rocprim17ROCPRIM_400000_NS6detail17trampoline_kernelINS0_14default_configENS1_25partition_config_selectorILNS1_17partition_subalgoE5EiNS0_10empty_typeEbEEZZNS1_14partition_implILS5_5ELb0ES3_mN6thrust23THRUST_200600_302600_NS17counting_iteratorIiNSA_11use_defaultESC_SC_EEPS6_NSA_18transform_iteratorINSA_8identityIiEENSA_6detail15normal_iteratorINSA_10device_ptrIiEEEESC_SC_EENS0_5tupleIJSM_S6_EEENSO_IJSE_SE_EEES6_PlJS6_EEE10hipError_tPvRmT3_T4_T5_T6_T7_T9_mT8_P12ihipStream_tbDpT10_ENKUlT_T0_E_clISt17integral_constantIbLb0EES1A_IbLb1EEEEDaS16_S17_EUlS16_E_NS1_11comp_targetILNS1_3genE10ELNS1_11target_archE1200ELNS1_3gpuE4ELNS1_3repE0EEENS1_30default_config_static_selectorELNS0_4arch9wavefront6targetE0EEEvT1_.has_recursion, 0
	.set _ZN7rocprim17ROCPRIM_400000_NS6detail17trampoline_kernelINS0_14default_configENS1_25partition_config_selectorILNS1_17partition_subalgoE5EiNS0_10empty_typeEbEEZZNS1_14partition_implILS5_5ELb0ES3_mN6thrust23THRUST_200600_302600_NS17counting_iteratorIiNSA_11use_defaultESC_SC_EEPS6_NSA_18transform_iteratorINSA_8identityIiEENSA_6detail15normal_iteratorINSA_10device_ptrIiEEEESC_SC_EENS0_5tupleIJSM_S6_EEENSO_IJSE_SE_EEES6_PlJS6_EEE10hipError_tPvRmT3_T4_T5_T6_T7_T9_mT8_P12ihipStream_tbDpT10_ENKUlT_T0_E_clISt17integral_constantIbLb0EES1A_IbLb1EEEEDaS16_S17_EUlS16_E_NS1_11comp_targetILNS1_3genE10ELNS1_11target_archE1200ELNS1_3gpuE4ELNS1_3repE0EEENS1_30default_config_static_selectorELNS0_4arch9wavefront6targetE0EEEvT1_.has_indirect_call, 0
	.section	.AMDGPU.csdata,"",@progbits
; Kernel info:
; codeLenInByte = 8880
; TotalNumSgprs: 22
; NumVgprs: 54
; ScratchSize: 0
; MemoryBound: 0
; FloatMode: 240
; IeeeMode: 1
; LDSByteSize: 6352 bytes/workgroup (compile time only)
; SGPRBlocks: 0
; VGPRBlocks: 6
; NumSGPRsForWavesPerEU: 22
; NumVGPRsForWavesPerEU: 54
; Occupancy: 15
; WaveLimiterHint : 1
; COMPUTE_PGM_RSRC2:SCRATCH_EN: 0
; COMPUTE_PGM_RSRC2:USER_SGPR: 2
; COMPUTE_PGM_RSRC2:TRAP_HANDLER: 0
; COMPUTE_PGM_RSRC2:TGID_X_EN: 1
; COMPUTE_PGM_RSRC2:TGID_Y_EN: 0
; COMPUTE_PGM_RSRC2:TGID_Z_EN: 0
; COMPUTE_PGM_RSRC2:TIDIG_COMP_CNT: 0
	.section	.text._ZN7rocprim17ROCPRIM_400000_NS6detail17trampoline_kernelINS0_14default_configENS1_25partition_config_selectorILNS1_17partition_subalgoE5EiNS0_10empty_typeEbEEZZNS1_14partition_implILS5_5ELb0ES3_mN6thrust23THRUST_200600_302600_NS17counting_iteratorIiNSA_11use_defaultESC_SC_EEPS6_NSA_18transform_iteratorINSA_8identityIiEENSA_6detail15normal_iteratorINSA_10device_ptrIiEEEESC_SC_EENS0_5tupleIJSM_S6_EEENSO_IJSE_SE_EEES6_PlJS6_EEE10hipError_tPvRmT3_T4_T5_T6_T7_T9_mT8_P12ihipStream_tbDpT10_ENKUlT_T0_E_clISt17integral_constantIbLb0EES1A_IbLb1EEEEDaS16_S17_EUlS16_E_NS1_11comp_targetILNS1_3genE9ELNS1_11target_archE1100ELNS1_3gpuE3ELNS1_3repE0EEENS1_30default_config_static_selectorELNS0_4arch9wavefront6targetE0EEEvT1_,"axG",@progbits,_ZN7rocprim17ROCPRIM_400000_NS6detail17trampoline_kernelINS0_14default_configENS1_25partition_config_selectorILNS1_17partition_subalgoE5EiNS0_10empty_typeEbEEZZNS1_14partition_implILS5_5ELb0ES3_mN6thrust23THRUST_200600_302600_NS17counting_iteratorIiNSA_11use_defaultESC_SC_EEPS6_NSA_18transform_iteratorINSA_8identityIiEENSA_6detail15normal_iteratorINSA_10device_ptrIiEEEESC_SC_EENS0_5tupleIJSM_S6_EEENSO_IJSE_SE_EEES6_PlJS6_EEE10hipError_tPvRmT3_T4_T5_T6_T7_T9_mT8_P12ihipStream_tbDpT10_ENKUlT_T0_E_clISt17integral_constantIbLb0EES1A_IbLb1EEEEDaS16_S17_EUlS16_E_NS1_11comp_targetILNS1_3genE9ELNS1_11target_archE1100ELNS1_3gpuE3ELNS1_3repE0EEENS1_30default_config_static_selectorELNS0_4arch9wavefront6targetE0EEEvT1_,comdat
	.protected	_ZN7rocprim17ROCPRIM_400000_NS6detail17trampoline_kernelINS0_14default_configENS1_25partition_config_selectorILNS1_17partition_subalgoE5EiNS0_10empty_typeEbEEZZNS1_14partition_implILS5_5ELb0ES3_mN6thrust23THRUST_200600_302600_NS17counting_iteratorIiNSA_11use_defaultESC_SC_EEPS6_NSA_18transform_iteratorINSA_8identityIiEENSA_6detail15normal_iteratorINSA_10device_ptrIiEEEESC_SC_EENS0_5tupleIJSM_S6_EEENSO_IJSE_SE_EEES6_PlJS6_EEE10hipError_tPvRmT3_T4_T5_T6_T7_T9_mT8_P12ihipStream_tbDpT10_ENKUlT_T0_E_clISt17integral_constantIbLb0EES1A_IbLb1EEEEDaS16_S17_EUlS16_E_NS1_11comp_targetILNS1_3genE9ELNS1_11target_archE1100ELNS1_3gpuE3ELNS1_3repE0EEENS1_30default_config_static_selectorELNS0_4arch9wavefront6targetE0EEEvT1_ ; -- Begin function _ZN7rocprim17ROCPRIM_400000_NS6detail17trampoline_kernelINS0_14default_configENS1_25partition_config_selectorILNS1_17partition_subalgoE5EiNS0_10empty_typeEbEEZZNS1_14partition_implILS5_5ELb0ES3_mN6thrust23THRUST_200600_302600_NS17counting_iteratorIiNSA_11use_defaultESC_SC_EEPS6_NSA_18transform_iteratorINSA_8identityIiEENSA_6detail15normal_iteratorINSA_10device_ptrIiEEEESC_SC_EENS0_5tupleIJSM_S6_EEENSO_IJSE_SE_EEES6_PlJS6_EEE10hipError_tPvRmT3_T4_T5_T6_T7_T9_mT8_P12ihipStream_tbDpT10_ENKUlT_T0_E_clISt17integral_constantIbLb0EES1A_IbLb1EEEEDaS16_S17_EUlS16_E_NS1_11comp_targetILNS1_3genE9ELNS1_11target_archE1100ELNS1_3gpuE3ELNS1_3repE0EEENS1_30default_config_static_selectorELNS0_4arch9wavefront6targetE0EEEvT1_
	.globl	_ZN7rocprim17ROCPRIM_400000_NS6detail17trampoline_kernelINS0_14default_configENS1_25partition_config_selectorILNS1_17partition_subalgoE5EiNS0_10empty_typeEbEEZZNS1_14partition_implILS5_5ELb0ES3_mN6thrust23THRUST_200600_302600_NS17counting_iteratorIiNSA_11use_defaultESC_SC_EEPS6_NSA_18transform_iteratorINSA_8identityIiEENSA_6detail15normal_iteratorINSA_10device_ptrIiEEEESC_SC_EENS0_5tupleIJSM_S6_EEENSO_IJSE_SE_EEES6_PlJS6_EEE10hipError_tPvRmT3_T4_T5_T6_T7_T9_mT8_P12ihipStream_tbDpT10_ENKUlT_T0_E_clISt17integral_constantIbLb0EES1A_IbLb1EEEEDaS16_S17_EUlS16_E_NS1_11comp_targetILNS1_3genE9ELNS1_11target_archE1100ELNS1_3gpuE3ELNS1_3repE0EEENS1_30default_config_static_selectorELNS0_4arch9wavefront6targetE0EEEvT1_
	.p2align	8
	.type	_ZN7rocprim17ROCPRIM_400000_NS6detail17trampoline_kernelINS0_14default_configENS1_25partition_config_selectorILNS1_17partition_subalgoE5EiNS0_10empty_typeEbEEZZNS1_14partition_implILS5_5ELb0ES3_mN6thrust23THRUST_200600_302600_NS17counting_iteratorIiNSA_11use_defaultESC_SC_EEPS6_NSA_18transform_iteratorINSA_8identityIiEENSA_6detail15normal_iteratorINSA_10device_ptrIiEEEESC_SC_EENS0_5tupleIJSM_S6_EEENSO_IJSE_SE_EEES6_PlJS6_EEE10hipError_tPvRmT3_T4_T5_T6_T7_T9_mT8_P12ihipStream_tbDpT10_ENKUlT_T0_E_clISt17integral_constantIbLb0EES1A_IbLb1EEEEDaS16_S17_EUlS16_E_NS1_11comp_targetILNS1_3genE9ELNS1_11target_archE1100ELNS1_3gpuE3ELNS1_3repE0EEENS1_30default_config_static_selectorELNS0_4arch9wavefront6targetE0EEEvT1_,@function
_ZN7rocprim17ROCPRIM_400000_NS6detail17trampoline_kernelINS0_14default_configENS1_25partition_config_selectorILNS1_17partition_subalgoE5EiNS0_10empty_typeEbEEZZNS1_14partition_implILS5_5ELb0ES3_mN6thrust23THRUST_200600_302600_NS17counting_iteratorIiNSA_11use_defaultESC_SC_EEPS6_NSA_18transform_iteratorINSA_8identityIiEENSA_6detail15normal_iteratorINSA_10device_ptrIiEEEESC_SC_EENS0_5tupleIJSM_S6_EEENSO_IJSE_SE_EEES6_PlJS6_EEE10hipError_tPvRmT3_T4_T5_T6_T7_T9_mT8_P12ihipStream_tbDpT10_ENKUlT_T0_E_clISt17integral_constantIbLb0EES1A_IbLb1EEEEDaS16_S17_EUlS16_E_NS1_11comp_targetILNS1_3genE9ELNS1_11target_archE1100ELNS1_3gpuE3ELNS1_3repE0EEENS1_30default_config_static_selectorELNS0_4arch9wavefront6targetE0EEEvT1_: ; @_ZN7rocprim17ROCPRIM_400000_NS6detail17trampoline_kernelINS0_14default_configENS1_25partition_config_selectorILNS1_17partition_subalgoE5EiNS0_10empty_typeEbEEZZNS1_14partition_implILS5_5ELb0ES3_mN6thrust23THRUST_200600_302600_NS17counting_iteratorIiNSA_11use_defaultESC_SC_EEPS6_NSA_18transform_iteratorINSA_8identityIiEENSA_6detail15normal_iteratorINSA_10device_ptrIiEEEESC_SC_EENS0_5tupleIJSM_S6_EEENSO_IJSE_SE_EEES6_PlJS6_EEE10hipError_tPvRmT3_T4_T5_T6_T7_T9_mT8_P12ihipStream_tbDpT10_ENKUlT_T0_E_clISt17integral_constantIbLb0EES1A_IbLb1EEEEDaS16_S17_EUlS16_E_NS1_11comp_targetILNS1_3genE9ELNS1_11target_archE1100ELNS1_3gpuE3ELNS1_3repE0EEENS1_30default_config_static_selectorELNS0_4arch9wavefront6targetE0EEEvT1_
; %bb.0:
	.section	.rodata,"a",@progbits
	.p2align	6, 0x0
	.amdhsa_kernel _ZN7rocprim17ROCPRIM_400000_NS6detail17trampoline_kernelINS0_14default_configENS1_25partition_config_selectorILNS1_17partition_subalgoE5EiNS0_10empty_typeEbEEZZNS1_14partition_implILS5_5ELb0ES3_mN6thrust23THRUST_200600_302600_NS17counting_iteratorIiNSA_11use_defaultESC_SC_EEPS6_NSA_18transform_iteratorINSA_8identityIiEENSA_6detail15normal_iteratorINSA_10device_ptrIiEEEESC_SC_EENS0_5tupleIJSM_S6_EEENSO_IJSE_SE_EEES6_PlJS6_EEE10hipError_tPvRmT3_T4_T5_T6_T7_T9_mT8_P12ihipStream_tbDpT10_ENKUlT_T0_E_clISt17integral_constantIbLb0EES1A_IbLb1EEEEDaS16_S17_EUlS16_E_NS1_11comp_targetILNS1_3genE9ELNS1_11target_archE1100ELNS1_3gpuE3ELNS1_3repE0EEENS1_30default_config_static_selectorELNS0_4arch9wavefront6targetE0EEEvT1_
		.amdhsa_group_segment_fixed_size 0
		.amdhsa_private_segment_fixed_size 0
		.amdhsa_kernarg_size 136
		.amdhsa_user_sgpr_count 2
		.amdhsa_user_sgpr_dispatch_ptr 0
		.amdhsa_user_sgpr_queue_ptr 0
		.amdhsa_user_sgpr_kernarg_segment_ptr 1
		.amdhsa_user_sgpr_dispatch_id 0
		.amdhsa_user_sgpr_private_segment_size 0
		.amdhsa_wavefront_size32 1
		.amdhsa_uses_dynamic_stack 0
		.amdhsa_enable_private_segment 0
		.amdhsa_system_sgpr_workgroup_id_x 1
		.amdhsa_system_sgpr_workgroup_id_y 0
		.amdhsa_system_sgpr_workgroup_id_z 0
		.amdhsa_system_sgpr_workgroup_info 0
		.amdhsa_system_vgpr_workitem_id 0
		.amdhsa_next_free_vgpr 1
		.amdhsa_next_free_sgpr 1
		.amdhsa_reserve_vcc 0
		.amdhsa_float_round_mode_32 0
		.amdhsa_float_round_mode_16_64 0
		.amdhsa_float_denorm_mode_32 3
		.amdhsa_float_denorm_mode_16_64 3
		.amdhsa_fp16_overflow 0
		.amdhsa_workgroup_processor_mode 1
		.amdhsa_memory_ordered 1
		.amdhsa_forward_progress 1
		.amdhsa_inst_pref_size 0
		.amdhsa_round_robin_scheduling 0
		.amdhsa_exception_fp_ieee_invalid_op 0
		.amdhsa_exception_fp_denorm_src 0
		.amdhsa_exception_fp_ieee_div_zero 0
		.amdhsa_exception_fp_ieee_overflow 0
		.amdhsa_exception_fp_ieee_underflow 0
		.amdhsa_exception_fp_ieee_inexact 0
		.amdhsa_exception_int_div_zero 0
	.end_amdhsa_kernel
	.section	.text._ZN7rocprim17ROCPRIM_400000_NS6detail17trampoline_kernelINS0_14default_configENS1_25partition_config_selectorILNS1_17partition_subalgoE5EiNS0_10empty_typeEbEEZZNS1_14partition_implILS5_5ELb0ES3_mN6thrust23THRUST_200600_302600_NS17counting_iteratorIiNSA_11use_defaultESC_SC_EEPS6_NSA_18transform_iteratorINSA_8identityIiEENSA_6detail15normal_iteratorINSA_10device_ptrIiEEEESC_SC_EENS0_5tupleIJSM_S6_EEENSO_IJSE_SE_EEES6_PlJS6_EEE10hipError_tPvRmT3_T4_T5_T6_T7_T9_mT8_P12ihipStream_tbDpT10_ENKUlT_T0_E_clISt17integral_constantIbLb0EES1A_IbLb1EEEEDaS16_S17_EUlS16_E_NS1_11comp_targetILNS1_3genE9ELNS1_11target_archE1100ELNS1_3gpuE3ELNS1_3repE0EEENS1_30default_config_static_selectorELNS0_4arch9wavefront6targetE0EEEvT1_,"axG",@progbits,_ZN7rocprim17ROCPRIM_400000_NS6detail17trampoline_kernelINS0_14default_configENS1_25partition_config_selectorILNS1_17partition_subalgoE5EiNS0_10empty_typeEbEEZZNS1_14partition_implILS5_5ELb0ES3_mN6thrust23THRUST_200600_302600_NS17counting_iteratorIiNSA_11use_defaultESC_SC_EEPS6_NSA_18transform_iteratorINSA_8identityIiEENSA_6detail15normal_iteratorINSA_10device_ptrIiEEEESC_SC_EENS0_5tupleIJSM_S6_EEENSO_IJSE_SE_EEES6_PlJS6_EEE10hipError_tPvRmT3_T4_T5_T6_T7_T9_mT8_P12ihipStream_tbDpT10_ENKUlT_T0_E_clISt17integral_constantIbLb0EES1A_IbLb1EEEEDaS16_S17_EUlS16_E_NS1_11comp_targetILNS1_3genE9ELNS1_11target_archE1100ELNS1_3gpuE3ELNS1_3repE0EEENS1_30default_config_static_selectorELNS0_4arch9wavefront6targetE0EEEvT1_,comdat
.Lfunc_end43:
	.size	_ZN7rocprim17ROCPRIM_400000_NS6detail17trampoline_kernelINS0_14default_configENS1_25partition_config_selectorILNS1_17partition_subalgoE5EiNS0_10empty_typeEbEEZZNS1_14partition_implILS5_5ELb0ES3_mN6thrust23THRUST_200600_302600_NS17counting_iteratorIiNSA_11use_defaultESC_SC_EEPS6_NSA_18transform_iteratorINSA_8identityIiEENSA_6detail15normal_iteratorINSA_10device_ptrIiEEEESC_SC_EENS0_5tupleIJSM_S6_EEENSO_IJSE_SE_EEES6_PlJS6_EEE10hipError_tPvRmT3_T4_T5_T6_T7_T9_mT8_P12ihipStream_tbDpT10_ENKUlT_T0_E_clISt17integral_constantIbLb0EES1A_IbLb1EEEEDaS16_S17_EUlS16_E_NS1_11comp_targetILNS1_3genE9ELNS1_11target_archE1100ELNS1_3gpuE3ELNS1_3repE0EEENS1_30default_config_static_selectorELNS0_4arch9wavefront6targetE0EEEvT1_, .Lfunc_end43-_ZN7rocprim17ROCPRIM_400000_NS6detail17trampoline_kernelINS0_14default_configENS1_25partition_config_selectorILNS1_17partition_subalgoE5EiNS0_10empty_typeEbEEZZNS1_14partition_implILS5_5ELb0ES3_mN6thrust23THRUST_200600_302600_NS17counting_iteratorIiNSA_11use_defaultESC_SC_EEPS6_NSA_18transform_iteratorINSA_8identityIiEENSA_6detail15normal_iteratorINSA_10device_ptrIiEEEESC_SC_EENS0_5tupleIJSM_S6_EEENSO_IJSE_SE_EEES6_PlJS6_EEE10hipError_tPvRmT3_T4_T5_T6_T7_T9_mT8_P12ihipStream_tbDpT10_ENKUlT_T0_E_clISt17integral_constantIbLb0EES1A_IbLb1EEEEDaS16_S17_EUlS16_E_NS1_11comp_targetILNS1_3genE9ELNS1_11target_archE1100ELNS1_3gpuE3ELNS1_3repE0EEENS1_30default_config_static_selectorELNS0_4arch9wavefront6targetE0EEEvT1_
                                        ; -- End function
	.set _ZN7rocprim17ROCPRIM_400000_NS6detail17trampoline_kernelINS0_14default_configENS1_25partition_config_selectorILNS1_17partition_subalgoE5EiNS0_10empty_typeEbEEZZNS1_14partition_implILS5_5ELb0ES3_mN6thrust23THRUST_200600_302600_NS17counting_iteratorIiNSA_11use_defaultESC_SC_EEPS6_NSA_18transform_iteratorINSA_8identityIiEENSA_6detail15normal_iteratorINSA_10device_ptrIiEEEESC_SC_EENS0_5tupleIJSM_S6_EEENSO_IJSE_SE_EEES6_PlJS6_EEE10hipError_tPvRmT3_T4_T5_T6_T7_T9_mT8_P12ihipStream_tbDpT10_ENKUlT_T0_E_clISt17integral_constantIbLb0EES1A_IbLb1EEEEDaS16_S17_EUlS16_E_NS1_11comp_targetILNS1_3genE9ELNS1_11target_archE1100ELNS1_3gpuE3ELNS1_3repE0EEENS1_30default_config_static_selectorELNS0_4arch9wavefront6targetE0EEEvT1_.num_vgpr, 0
	.set _ZN7rocprim17ROCPRIM_400000_NS6detail17trampoline_kernelINS0_14default_configENS1_25partition_config_selectorILNS1_17partition_subalgoE5EiNS0_10empty_typeEbEEZZNS1_14partition_implILS5_5ELb0ES3_mN6thrust23THRUST_200600_302600_NS17counting_iteratorIiNSA_11use_defaultESC_SC_EEPS6_NSA_18transform_iteratorINSA_8identityIiEENSA_6detail15normal_iteratorINSA_10device_ptrIiEEEESC_SC_EENS0_5tupleIJSM_S6_EEENSO_IJSE_SE_EEES6_PlJS6_EEE10hipError_tPvRmT3_T4_T5_T6_T7_T9_mT8_P12ihipStream_tbDpT10_ENKUlT_T0_E_clISt17integral_constantIbLb0EES1A_IbLb1EEEEDaS16_S17_EUlS16_E_NS1_11comp_targetILNS1_3genE9ELNS1_11target_archE1100ELNS1_3gpuE3ELNS1_3repE0EEENS1_30default_config_static_selectorELNS0_4arch9wavefront6targetE0EEEvT1_.num_agpr, 0
	.set _ZN7rocprim17ROCPRIM_400000_NS6detail17trampoline_kernelINS0_14default_configENS1_25partition_config_selectorILNS1_17partition_subalgoE5EiNS0_10empty_typeEbEEZZNS1_14partition_implILS5_5ELb0ES3_mN6thrust23THRUST_200600_302600_NS17counting_iteratorIiNSA_11use_defaultESC_SC_EEPS6_NSA_18transform_iteratorINSA_8identityIiEENSA_6detail15normal_iteratorINSA_10device_ptrIiEEEESC_SC_EENS0_5tupleIJSM_S6_EEENSO_IJSE_SE_EEES6_PlJS6_EEE10hipError_tPvRmT3_T4_T5_T6_T7_T9_mT8_P12ihipStream_tbDpT10_ENKUlT_T0_E_clISt17integral_constantIbLb0EES1A_IbLb1EEEEDaS16_S17_EUlS16_E_NS1_11comp_targetILNS1_3genE9ELNS1_11target_archE1100ELNS1_3gpuE3ELNS1_3repE0EEENS1_30default_config_static_selectorELNS0_4arch9wavefront6targetE0EEEvT1_.numbered_sgpr, 0
	.set _ZN7rocprim17ROCPRIM_400000_NS6detail17trampoline_kernelINS0_14default_configENS1_25partition_config_selectorILNS1_17partition_subalgoE5EiNS0_10empty_typeEbEEZZNS1_14partition_implILS5_5ELb0ES3_mN6thrust23THRUST_200600_302600_NS17counting_iteratorIiNSA_11use_defaultESC_SC_EEPS6_NSA_18transform_iteratorINSA_8identityIiEENSA_6detail15normal_iteratorINSA_10device_ptrIiEEEESC_SC_EENS0_5tupleIJSM_S6_EEENSO_IJSE_SE_EEES6_PlJS6_EEE10hipError_tPvRmT3_T4_T5_T6_T7_T9_mT8_P12ihipStream_tbDpT10_ENKUlT_T0_E_clISt17integral_constantIbLb0EES1A_IbLb1EEEEDaS16_S17_EUlS16_E_NS1_11comp_targetILNS1_3genE9ELNS1_11target_archE1100ELNS1_3gpuE3ELNS1_3repE0EEENS1_30default_config_static_selectorELNS0_4arch9wavefront6targetE0EEEvT1_.num_named_barrier, 0
	.set _ZN7rocprim17ROCPRIM_400000_NS6detail17trampoline_kernelINS0_14default_configENS1_25partition_config_selectorILNS1_17partition_subalgoE5EiNS0_10empty_typeEbEEZZNS1_14partition_implILS5_5ELb0ES3_mN6thrust23THRUST_200600_302600_NS17counting_iteratorIiNSA_11use_defaultESC_SC_EEPS6_NSA_18transform_iteratorINSA_8identityIiEENSA_6detail15normal_iteratorINSA_10device_ptrIiEEEESC_SC_EENS0_5tupleIJSM_S6_EEENSO_IJSE_SE_EEES6_PlJS6_EEE10hipError_tPvRmT3_T4_T5_T6_T7_T9_mT8_P12ihipStream_tbDpT10_ENKUlT_T0_E_clISt17integral_constantIbLb0EES1A_IbLb1EEEEDaS16_S17_EUlS16_E_NS1_11comp_targetILNS1_3genE9ELNS1_11target_archE1100ELNS1_3gpuE3ELNS1_3repE0EEENS1_30default_config_static_selectorELNS0_4arch9wavefront6targetE0EEEvT1_.private_seg_size, 0
	.set _ZN7rocprim17ROCPRIM_400000_NS6detail17trampoline_kernelINS0_14default_configENS1_25partition_config_selectorILNS1_17partition_subalgoE5EiNS0_10empty_typeEbEEZZNS1_14partition_implILS5_5ELb0ES3_mN6thrust23THRUST_200600_302600_NS17counting_iteratorIiNSA_11use_defaultESC_SC_EEPS6_NSA_18transform_iteratorINSA_8identityIiEENSA_6detail15normal_iteratorINSA_10device_ptrIiEEEESC_SC_EENS0_5tupleIJSM_S6_EEENSO_IJSE_SE_EEES6_PlJS6_EEE10hipError_tPvRmT3_T4_T5_T6_T7_T9_mT8_P12ihipStream_tbDpT10_ENKUlT_T0_E_clISt17integral_constantIbLb0EES1A_IbLb1EEEEDaS16_S17_EUlS16_E_NS1_11comp_targetILNS1_3genE9ELNS1_11target_archE1100ELNS1_3gpuE3ELNS1_3repE0EEENS1_30default_config_static_selectorELNS0_4arch9wavefront6targetE0EEEvT1_.uses_vcc, 0
	.set _ZN7rocprim17ROCPRIM_400000_NS6detail17trampoline_kernelINS0_14default_configENS1_25partition_config_selectorILNS1_17partition_subalgoE5EiNS0_10empty_typeEbEEZZNS1_14partition_implILS5_5ELb0ES3_mN6thrust23THRUST_200600_302600_NS17counting_iteratorIiNSA_11use_defaultESC_SC_EEPS6_NSA_18transform_iteratorINSA_8identityIiEENSA_6detail15normal_iteratorINSA_10device_ptrIiEEEESC_SC_EENS0_5tupleIJSM_S6_EEENSO_IJSE_SE_EEES6_PlJS6_EEE10hipError_tPvRmT3_T4_T5_T6_T7_T9_mT8_P12ihipStream_tbDpT10_ENKUlT_T0_E_clISt17integral_constantIbLb0EES1A_IbLb1EEEEDaS16_S17_EUlS16_E_NS1_11comp_targetILNS1_3genE9ELNS1_11target_archE1100ELNS1_3gpuE3ELNS1_3repE0EEENS1_30default_config_static_selectorELNS0_4arch9wavefront6targetE0EEEvT1_.uses_flat_scratch, 0
	.set _ZN7rocprim17ROCPRIM_400000_NS6detail17trampoline_kernelINS0_14default_configENS1_25partition_config_selectorILNS1_17partition_subalgoE5EiNS0_10empty_typeEbEEZZNS1_14partition_implILS5_5ELb0ES3_mN6thrust23THRUST_200600_302600_NS17counting_iteratorIiNSA_11use_defaultESC_SC_EEPS6_NSA_18transform_iteratorINSA_8identityIiEENSA_6detail15normal_iteratorINSA_10device_ptrIiEEEESC_SC_EENS0_5tupleIJSM_S6_EEENSO_IJSE_SE_EEES6_PlJS6_EEE10hipError_tPvRmT3_T4_T5_T6_T7_T9_mT8_P12ihipStream_tbDpT10_ENKUlT_T0_E_clISt17integral_constantIbLb0EES1A_IbLb1EEEEDaS16_S17_EUlS16_E_NS1_11comp_targetILNS1_3genE9ELNS1_11target_archE1100ELNS1_3gpuE3ELNS1_3repE0EEENS1_30default_config_static_selectorELNS0_4arch9wavefront6targetE0EEEvT1_.has_dyn_sized_stack, 0
	.set _ZN7rocprim17ROCPRIM_400000_NS6detail17trampoline_kernelINS0_14default_configENS1_25partition_config_selectorILNS1_17partition_subalgoE5EiNS0_10empty_typeEbEEZZNS1_14partition_implILS5_5ELb0ES3_mN6thrust23THRUST_200600_302600_NS17counting_iteratorIiNSA_11use_defaultESC_SC_EEPS6_NSA_18transform_iteratorINSA_8identityIiEENSA_6detail15normal_iteratorINSA_10device_ptrIiEEEESC_SC_EENS0_5tupleIJSM_S6_EEENSO_IJSE_SE_EEES6_PlJS6_EEE10hipError_tPvRmT3_T4_T5_T6_T7_T9_mT8_P12ihipStream_tbDpT10_ENKUlT_T0_E_clISt17integral_constantIbLb0EES1A_IbLb1EEEEDaS16_S17_EUlS16_E_NS1_11comp_targetILNS1_3genE9ELNS1_11target_archE1100ELNS1_3gpuE3ELNS1_3repE0EEENS1_30default_config_static_selectorELNS0_4arch9wavefront6targetE0EEEvT1_.has_recursion, 0
	.set _ZN7rocprim17ROCPRIM_400000_NS6detail17trampoline_kernelINS0_14default_configENS1_25partition_config_selectorILNS1_17partition_subalgoE5EiNS0_10empty_typeEbEEZZNS1_14partition_implILS5_5ELb0ES3_mN6thrust23THRUST_200600_302600_NS17counting_iteratorIiNSA_11use_defaultESC_SC_EEPS6_NSA_18transform_iteratorINSA_8identityIiEENSA_6detail15normal_iteratorINSA_10device_ptrIiEEEESC_SC_EENS0_5tupleIJSM_S6_EEENSO_IJSE_SE_EEES6_PlJS6_EEE10hipError_tPvRmT3_T4_T5_T6_T7_T9_mT8_P12ihipStream_tbDpT10_ENKUlT_T0_E_clISt17integral_constantIbLb0EES1A_IbLb1EEEEDaS16_S17_EUlS16_E_NS1_11comp_targetILNS1_3genE9ELNS1_11target_archE1100ELNS1_3gpuE3ELNS1_3repE0EEENS1_30default_config_static_selectorELNS0_4arch9wavefront6targetE0EEEvT1_.has_indirect_call, 0
	.section	.AMDGPU.csdata,"",@progbits
; Kernel info:
; codeLenInByte = 0
; TotalNumSgprs: 0
; NumVgprs: 0
; ScratchSize: 0
; MemoryBound: 0
; FloatMode: 240
; IeeeMode: 1
; LDSByteSize: 0 bytes/workgroup (compile time only)
; SGPRBlocks: 0
; VGPRBlocks: 0
; NumSGPRsForWavesPerEU: 1
; NumVGPRsForWavesPerEU: 1
; Occupancy: 16
; WaveLimiterHint : 0
; COMPUTE_PGM_RSRC2:SCRATCH_EN: 0
; COMPUTE_PGM_RSRC2:USER_SGPR: 2
; COMPUTE_PGM_RSRC2:TRAP_HANDLER: 0
; COMPUTE_PGM_RSRC2:TGID_X_EN: 1
; COMPUTE_PGM_RSRC2:TGID_Y_EN: 0
; COMPUTE_PGM_RSRC2:TGID_Z_EN: 0
; COMPUTE_PGM_RSRC2:TIDIG_COMP_CNT: 0
	.section	.text._ZN7rocprim17ROCPRIM_400000_NS6detail17trampoline_kernelINS0_14default_configENS1_25partition_config_selectorILNS1_17partition_subalgoE5EiNS0_10empty_typeEbEEZZNS1_14partition_implILS5_5ELb0ES3_mN6thrust23THRUST_200600_302600_NS17counting_iteratorIiNSA_11use_defaultESC_SC_EEPS6_NSA_18transform_iteratorINSA_8identityIiEENSA_6detail15normal_iteratorINSA_10device_ptrIiEEEESC_SC_EENS0_5tupleIJSM_S6_EEENSO_IJSE_SE_EEES6_PlJS6_EEE10hipError_tPvRmT3_T4_T5_T6_T7_T9_mT8_P12ihipStream_tbDpT10_ENKUlT_T0_E_clISt17integral_constantIbLb0EES1A_IbLb1EEEEDaS16_S17_EUlS16_E_NS1_11comp_targetILNS1_3genE8ELNS1_11target_archE1030ELNS1_3gpuE2ELNS1_3repE0EEENS1_30default_config_static_selectorELNS0_4arch9wavefront6targetE0EEEvT1_,"axG",@progbits,_ZN7rocprim17ROCPRIM_400000_NS6detail17trampoline_kernelINS0_14default_configENS1_25partition_config_selectorILNS1_17partition_subalgoE5EiNS0_10empty_typeEbEEZZNS1_14partition_implILS5_5ELb0ES3_mN6thrust23THRUST_200600_302600_NS17counting_iteratorIiNSA_11use_defaultESC_SC_EEPS6_NSA_18transform_iteratorINSA_8identityIiEENSA_6detail15normal_iteratorINSA_10device_ptrIiEEEESC_SC_EENS0_5tupleIJSM_S6_EEENSO_IJSE_SE_EEES6_PlJS6_EEE10hipError_tPvRmT3_T4_T5_T6_T7_T9_mT8_P12ihipStream_tbDpT10_ENKUlT_T0_E_clISt17integral_constantIbLb0EES1A_IbLb1EEEEDaS16_S17_EUlS16_E_NS1_11comp_targetILNS1_3genE8ELNS1_11target_archE1030ELNS1_3gpuE2ELNS1_3repE0EEENS1_30default_config_static_selectorELNS0_4arch9wavefront6targetE0EEEvT1_,comdat
	.protected	_ZN7rocprim17ROCPRIM_400000_NS6detail17trampoline_kernelINS0_14default_configENS1_25partition_config_selectorILNS1_17partition_subalgoE5EiNS0_10empty_typeEbEEZZNS1_14partition_implILS5_5ELb0ES3_mN6thrust23THRUST_200600_302600_NS17counting_iteratorIiNSA_11use_defaultESC_SC_EEPS6_NSA_18transform_iteratorINSA_8identityIiEENSA_6detail15normal_iteratorINSA_10device_ptrIiEEEESC_SC_EENS0_5tupleIJSM_S6_EEENSO_IJSE_SE_EEES6_PlJS6_EEE10hipError_tPvRmT3_T4_T5_T6_T7_T9_mT8_P12ihipStream_tbDpT10_ENKUlT_T0_E_clISt17integral_constantIbLb0EES1A_IbLb1EEEEDaS16_S17_EUlS16_E_NS1_11comp_targetILNS1_3genE8ELNS1_11target_archE1030ELNS1_3gpuE2ELNS1_3repE0EEENS1_30default_config_static_selectorELNS0_4arch9wavefront6targetE0EEEvT1_ ; -- Begin function _ZN7rocprim17ROCPRIM_400000_NS6detail17trampoline_kernelINS0_14default_configENS1_25partition_config_selectorILNS1_17partition_subalgoE5EiNS0_10empty_typeEbEEZZNS1_14partition_implILS5_5ELb0ES3_mN6thrust23THRUST_200600_302600_NS17counting_iteratorIiNSA_11use_defaultESC_SC_EEPS6_NSA_18transform_iteratorINSA_8identityIiEENSA_6detail15normal_iteratorINSA_10device_ptrIiEEEESC_SC_EENS0_5tupleIJSM_S6_EEENSO_IJSE_SE_EEES6_PlJS6_EEE10hipError_tPvRmT3_T4_T5_T6_T7_T9_mT8_P12ihipStream_tbDpT10_ENKUlT_T0_E_clISt17integral_constantIbLb0EES1A_IbLb1EEEEDaS16_S17_EUlS16_E_NS1_11comp_targetILNS1_3genE8ELNS1_11target_archE1030ELNS1_3gpuE2ELNS1_3repE0EEENS1_30default_config_static_selectorELNS0_4arch9wavefront6targetE0EEEvT1_
	.globl	_ZN7rocprim17ROCPRIM_400000_NS6detail17trampoline_kernelINS0_14default_configENS1_25partition_config_selectorILNS1_17partition_subalgoE5EiNS0_10empty_typeEbEEZZNS1_14partition_implILS5_5ELb0ES3_mN6thrust23THRUST_200600_302600_NS17counting_iteratorIiNSA_11use_defaultESC_SC_EEPS6_NSA_18transform_iteratorINSA_8identityIiEENSA_6detail15normal_iteratorINSA_10device_ptrIiEEEESC_SC_EENS0_5tupleIJSM_S6_EEENSO_IJSE_SE_EEES6_PlJS6_EEE10hipError_tPvRmT3_T4_T5_T6_T7_T9_mT8_P12ihipStream_tbDpT10_ENKUlT_T0_E_clISt17integral_constantIbLb0EES1A_IbLb1EEEEDaS16_S17_EUlS16_E_NS1_11comp_targetILNS1_3genE8ELNS1_11target_archE1030ELNS1_3gpuE2ELNS1_3repE0EEENS1_30default_config_static_selectorELNS0_4arch9wavefront6targetE0EEEvT1_
	.p2align	8
	.type	_ZN7rocprim17ROCPRIM_400000_NS6detail17trampoline_kernelINS0_14default_configENS1_25partition_config_selectorILNS1_17partition_subalgoE5EiNS0_10empty_typeEbEEZZNS1_14partition_implILS5_5ELb0ES3_mN6thrust23THRUST_200600_302600_NS17counting_iteratorIiNSA_11use_defaultESC_SC_EEPS6_NSA_18transform_iteratorINSA_8identityIiEENSA_6detail15normal_iteratorINSA_10device_ptrIiEEEESC_SC_EENS0_5tupleIJSM_S6_EEENSO_IJSE_SE_EEES6_PlJS6_EEE10hipError_tPvRmT3_T4_T5_T6_T7_T9_mT8_P12ihipStream_tbDpT10_ENKUlT_T0_E_clISt17integral_constantIbLb0EES1A_IbLb1EEEEDaS16_S17_EUlS16_E_NS1_11comp_targetILNS1_3genE8ELNS1_11target_archE1030ELNS1_3gpuE2ELNS1_3repE0EEENS1_30default_config_static_selectorELNS0_4arch9wavefront6targetE0EEEvT1_,@function
_ZN7rocprim17ROCPRIM_400000_NS6detail17trampoline_kernelINS0_14default_configENS1_25partition_config_selectorILNS1_17partition_subalgoE5EiNS0_10empty_typeEbEEZZNS1_14partition_implILS5_5ELb0ES3_mN6thrust23THRUST_200600_302600_NS17counting_iteratorIiNSA_11use_defaultESC_SC_EEPS6_NSA_18transform_iteratorINSA_8identityIiEENSA_6detail15normal_iteratorINSA_10device_ptrIiEEEESC_SC_EENS0_5tupleIJSM_S6_EEENSO_IJSE_SE_EEES6_PlJS6_EEE10hipError_tPvRmT3_T4_T5_T6_T7_T9_mT8_P12ihipStream_tbDpT10_ENKUlT_T0_E_clISt17integral_constantIbLb0EES1A_IbLb1EEEEDaS16_S17_EUlS16_E_NS1_11comp_targetILNS1_3genE8ELNS1_11target_archE1030ELNS1_3gpuE2ELNS1_3repE0EEENS1_30default_config_static_selectorELNS0_4arch9wavefront6targetE0EEEvT1_: ; @_ZN7rocprim17ROCPRIM_400000_NS6detail17trampoline_kernelINS0_14default_configENS1_25partition_config_selectorILNS1_17partition_subalgoE5EiNS0_10empty_typeEbEEZZNS1_14partition_implILS5_5ELb0ES3_mN6thrust23THRUST_200600_302600_NS17counting_iteratorIiNSA_11use_defaultESC_SC_EEPS6_NSA_18transform_iteratorINSA_8identityIiEENSA_6detail15normal_iteratorINSA_10device_ptrIiEEEESC_SC_EENS0_5tupleIJSM_S6_EEENSO_IJSE_SE_EEES6_PlJS6_EEE10hipError_tPvRmT3_T4_T5_T6_T7_T9_mT8_P12ihipStream_tbDpT10_ENKUlT_T0_E_clISt17integral_constantIbLb0EES1A_IbLb1EEEEDaS16_S17_EUlS16_E_NS1_11comp_targetILNS1_3genE8ELNS1_11target_archE1030ELNS1_3gpuE2ELNS1_3repE0EEENS1_30default_config_static_selectorELNS0_4arch9wavefront6targetE0EEEvT1_
; %bb.0:
	.section	.rodata,"a",@progbits
	.p2align	6, 0x0
	.amdhsa_kernel _ZN7rocprim17ROCPRIM_400000_NS6detail17trampoline_kernelINS0_14default_configENS1_25partition_config_selectorILNS1_17partition_subalgoE5EiNS0_10empty_typeEbEEZZNS1_14partition_implILS5_5ELb0ES3_mN6thrust23THRUST_200600_302600_NS17counting_iteratorIiNSA_11use_defaultESC_SC_EEPS6_NSA_18transform_iteratorINSA_8identityIiEENSA_6detail15normal_iteratorINSA_10device_ptrIiEEEESC_SC_EENS0_5tupleIJSM_S6_EEENSO_IJSE_SE_EEES6_PlJS6_EEE10hipError_tPvRmT3_T4_T5_T6_T7_T9_mT8_P12ihipStream_tbDpT10_ENKUlT_T0_E_clISt17integral_constantIbLb0EES1A_IbLb1EEEEDaS16_S17_EUlS16_E_NS1_11comp_targetILNS1_3genE8ELNS1_11target_archE1030ELNS1_3gpuE2ELNS1_3repE0EEENS1_30default_config_static_selectorELNS0_4arch9wavefront6targetE0EEEvT1_
		.amdhsa_group_segment_fixed_size 0
		.amdhsa_private_segment_fixed_size 0
		.amdhsa_kernarg_size 136
		.amdhsa_user_sgpr_count 2
		.amdhsa_user_sgpr_dispatch_ptr 0
		.amdhsa_user_sgpr_queue_ptr 0
		.amdhsa_user_sgpr_kernarg_segment_ptr 1
		.amdhsa_user_sgpr_dispatch_id 0
		.amdhsa_user_sgpr_private_segment_size 0
		.amdhsa_wavefront_size32 1
		.amdhsa_uses_dynamic_stack 0
		.amdhsa_enable_private_segment 0
		.amdhsa_system_sgpr_workgroup_id_x 1
		.amdhsa_system_sgpr_workgroup_id_y 0
		.amdhsa_system_sgpr_workgroup_id_z 0
		.amdhsa_system_sgpr_workgroup_info 0
		.amdhsa_system_vgpr_workitem_id 0
		.amdhsa_next_free_vgpr 1
		.amdhsa_next_free_sgpr 1
		.amdhsa_reserve_vcc 0
		.amdhsa_float_round_mode_32 0
		.amdhsa_float_round_mode_16_64 0
		.amdhsa_float_denorm_mode_32 3
		.amdhsa_float_denorm_mode_16_64 3
		.amdhsa_fp16_overflow 0
		.amdhsa_workgroup_processor_mode 1
		.amdhsa_memory_ordered 1
		.amdhsa_forward_progress 1
		.amdhsa_inst_pref_size 0
		.amdhsa_round_robin_scheduling 0
		.amdhsa_exception_fp_ieee_invalid_op 0
		.amdhsa_exception_fp_denorm_src 0
		.amdhsa_exception_fp_ieee_div_zero 0
		.amdhsa_exception_fp_ieee_overflow 0
		.amdhsa_exception_fp_ieee_underflow 0
		.amdhsa_exception_fp_ieee_inexact 0
		.amdhsa_exception_int_div_zero 0
	.end_amdhsa_kernel
	.section	.text._ZN7rocprim17ROCPRIM_400000_NS6detail17trampoline_kernelINS0_14default_configENS1_25partition_config_selectorILNS1_17partition_subalgoE5EiNS0_10empty_typeEbEEZZNS1_14partition_implILS5_5ELb0ES3_mN6thrust23THRUST_200600_302600_NS17counting_iteratorIiNSA_11use_defaultESC_SC_EEPS6_NSA_18transform_iteratorINSA_8identityIiEENSA_6detail15normal_iteratorINSA_10device_ptrIiEEEESC_SC_EENS0_5tupleIJSM_S6_EEENSO_IJSE_SE_EEES6_PlJS6_EEE10hipError_tPvRmT3_T4_T5_T6_T7_T9_mT8_P12ihipStream_tbDpT10_ENKUlT_T0_E_clISt17integral_constantIbLb0EES1A_IbLb1EEEEDaS16_S17_EUlS16_E_NS1_11comp_targetILNS1_3genE8ELNS1_11target_archE1030ELNS1_3gpuE2ELNS1_3repE0EEENS1_30default_config_static_selectorELNS0_4arch9wavefront6targetE0EEEvT1_,"axG",@progbits,_ZN7rocprim17ROCPRIM_400000_NS6detail17trampoline_kernelINS0_14default_configENS1_25partition_config_selectorILNS1_17partition_subalgoE5EiNS0_10empty_typeEbEEZZNS1_14partition_implILS5_5ELb0ES3_mN6thrust23THRUST_200600_302600_NS17counting_iteratorIiNSA_11use_defaultESC_SC_EEPS6_NSA_18transform_iteratorINSA_8identityIiEENSA_6detail15normal_iteratorINSA_10device_ptrIiEEEESC_SC_EENS0_5tupleIJSM_S6_EEENSO_IJSE_SE_EEES6_PlJS6_EEE10hipError_tPvRmT3_T4_T5_T6_T7_T9_mT8_P12ihipStream_tbDpT10_ENKUlT_T0_E_clISt17integral_constantIbLb0EES1A_IbLb1EEEEDaS16_S17_EUlS16_E_NS1_11comp_targetILNS1_3genE8ELNS1_11target_archE1030ELNS1_3gpuE2ELNS1_3repE0EEENS1_30default_config_static_selectorELNS0_4arch9wavefront6targetE0EEEvT1_,comdat
.Lfunc_end44:
	.size	_ZN7rocprim17ROCPRIM_400000_NS6detail17trampoline_kernelINS0_14default_configENS1_25partition_config_selectorILNS1_17partition_subalgoE5EiNS0_10empty_typeEbEEZZNS1_14partition_implILS5_5ELb0ES3_mN6thrust23THRUST_200600_302600_NS17counting_iteratorIiNSA_11use_defaultESC_SC_EEPS6_NSA_18transform_iteratorINSA_8identityIiEENSA_6detail15normal_iteratorINSA_10device_ptrIiEEEESC_SC_EENS0_5tupleIJSM_S6_EEENSO_IJSE_SE_EEES6_PlJS6_EEE10hipError_tPvRmT3_T4_T5_T6_T7_T9_mT8_P12ihipStream_tbDpT10_ENKUlT_T0_E_clISt17integral_constantIbLb0EES1A_IbLb1EEEEDaS16_S17_EUlS16_E_NS1_11comp_targetILNS1_3genE8ELNS1_11target_archE1030ELNS1_3gpuE2ELNS1_3repE0EEENS1_30default_config_static_selectorELNS0_4arch9wavefront6targetE0EEEvT1_, .Lfunc_end44-_ZN7rocprim17ROCPRIM_400000_NS6detail17trampoline_kernelINS0_14default_configENS1_25partition_config_selectorILNS1_17partition_subalgoE5EiNS0_10empty_typeEbEEZZNS1_14partition_implILS5_5ELb0ES3_mN6thrust23THRUST_200600_302600_NS17counting_iteratorIiNSA_11use_defaultESC_SC_EEPS6_NSA_18transform_iteratorINSA_8identityIiEENSA_6detail15normal_iteratorINSA_10device_ptrIiEEEESC_SC_EENS0_5tupleIJSM_S6_EEENSO_IJSE_SE_EEES6_PlJS6_EEE10hipError_tPvRmT3_T4_T5_T6_T7_T9_mT8_P12ihipStream_tbDpT10_ENKUlT_T0_E_clISt17integral_constantIbLb0EES1A_IbLb1EEEEDaS16_S17_EUlS16_E_NS1_11comp_targetILNS1_3genE8ELNS1_11target_archE1030ELNS1_3gpuE2ELNS1_3repE0EEENS1_30default_config_static_selectorELNS0_4arch9wavefront6targetE0EEEvT1_
                                        ; -- End function
	.set _ZN7rocprim17ROCPRIM_400000_NS6detail17trampoline_kernelINS0_14default_configENS1_25partition_config_selectorILNS1_17partition_subalgoE5EiNS0_10empty_typeEbEEZZNS1_14partition_implILS5_5ELb0ES3_mN6thrust23THRUST_200600_302600_NS17counting_iteratorIiNSA_11use_defaultESC_SC_EEPS6_NSA_18transform_iteratorINSA_8identityIiEENSA_6detail15normal_iteratorINSA_10device_ptrIiEEEESC_SC_EENS0_5tupleIJSM_S6_EEENSO_IJSE_SE_EEES6_PlJS6_EEE10hipError_tPvRmT3_T4_T5_T6_T7_T9_mT8_P12ihipStream_tbDpT10_ENKUlT_T0_E_clISt17integral_constantIbLb0EES1A_IbLb1EEEEDaS16_S17_EUlS16_E_NS1_11comp_targetILNS1_3genE8ELNS1_11target_archE1030ELNS1_3gpuE2ELNS1_3repE0EEENS1_30default_config_static_selectorELNS0_4arch9wavefront6targetE0EEEvT1_.num_vgpr, 0
	.set _ZN7rocprim17ROCPRIM_400000_NS6detail17trampoline_kernelINS0_14default_configENS1_25partition_config_selectorILNS1_17partition_subalgoE5EiNS0_10empty_typeEbEEZZNS1_14partition_implILS5_5ELb0ES3_mN6thrust23THRUST_200600_302600_NS17counting_iteratorIiNSA_11use_defaultESC_SC_EEPS6_NSA_18transform_iteratorINSA_8identityIiEENSA_6detail15normal_iteratorINSA_10device_ptrIiEEEESC_SC_EENS0_5tupleIJSM_S6_EEENSO_IJSE_SE_EEES6_PlJS6_EEE10hipError_tPvRmT3_T4_T5_T6_T7_T9_mT8_P12ihipStream_tbDpT10_ENKUlT_T0_E_clISt17integral_constantIbLb0EES1A_IbLb1EEEEDaS16_S17_EUlS16_E_NS1_11comp_targetILNS1_3genE8ELNS1_11target_archE1030ELNS1_3gpuE2ELNS1_3repE0EEENS1_30default_config_static_selectorELNS0_4arch9wavefront6targetE0EEEvT1_.num_agpr, 0
	.set _ZN7rocprim17ROCPRIM_400000_NS6detail17trampoline_kernelINS0_14default_configENS1_25partition_config_selectorILNS1_17partition_subalgoE5EiNS0_10empty_typeEbEEZZNS1_14partition_implILS5_5ELb0ES3_mN6thrust23THRUST_200600_302600_NS17counting_iteratorIiNSA_11use_defaultESC_SC_EEPS6_NSA_18transform_iteratorINSA_8identityIiEENSA_6detail15normal_iteratorINSA_10device_ptrIiEEEESC_SC_EENS0_5tupleIJSM_S6_EEENSO_IJSE_SE_EEES6_PlJS6_EEE10hipError_tPvRmT3_T4_T5_T6_T7_T9_mT8_P12ihipStream_tbDpT10_ENKUlT_T0_E_clISt17integral_constantIbLb0EES1A_IbLb1EEEEDaS16_S17_EUlS16_E_NS1_11comp_targetILNS1_3genE8ELNS1_11target_archE1030ELNS1_3gpuE2ELNS1_3repE0EEENS1_30default_config_static_selectorELNS0_4arch9wavefront6targetE0EEEvT1_.numbered_sgpr, 0
	.set _ZN7rocprim17ROCPRIM_400000_NS6detail17trampoline_kernelINS0_14default_configENS1_25partition_config_selectorILNS1_17partition_subalgoE5EiNS0_10empty_typeEbEEZZNS1_14partition_implILS5_5ELb0ES3_mN6thrust23THRUST_200600_302600_NS17counting_iteratorIiNSA_11use_defaultESC_SC_EEPS6_NSA_18transform_iteratorINSA_8identityIiEENSA_6detail15normal_iteratorINSA_10device_ptrIiEEEESC_SC_EENS0_5tupleIJSM_S6_EEENSO_IJSE_SE_EEES6_PlJS6_EEE10hipError_tPvRmT3_T4_T5_T6_T7_T9_mT8_P12ihipStream_tbDpT10_ENKUlT_T0_E_clISt17integral_constantIbLb0EES1A_IbLb1EEEEDaS16_S17_EUlS16_E_NS1_11comp_targetILNS1_3genE8ELNS1_11target_archE1030ELNS1_3gpuE2ELNS1_3repE0EEENS1_30default_config_static_selectorELNS0_4arch9wavefront6targetE0EEEvT1_.num_named_barrier, 0
	.set _ZN7rocprim17ROCPRIM_400000_NS6detail17trampoline_kernelINS0_14default_configENS1_25partition_config_selectorILNS1_17partition_subalgoE5EiNS0_10empty_typeEbEEZZNS1_14partition_implILS5_5ELb0ES3_mN6thrust23THRUST_200600_302600_NS17counting_iteratorIiNSA_11use_defaultESC_SC_EEPS6_NSA_18transform_iteratorINSA_8identityIiEENSA_6detail15normal_iteratorINSA_10device_ptrIiEEEESC_SC_EENS0_5tupleIJSM_S6_EEENSO_IJSE_SE_EEES6_PlJS6_EEE10hipError_tPvRmT3_T4_T5_T6_T7_T9_mT8_P12ihipStream_tbDpT10_ENKUlT_T0_E_clISt17integral_constantIbLb0EES1A_IbLb1EEEEDaS16_S17_EUlS16_E_NS1_11comp_targetILNS1_3genE8ELNS1_11target_archE1030ELNS1_3gpuE2ELNS1_3repE0EEENS1_30default_config_static_selectorELNS0_4arch9wavefront6targetE0EEEvT1_.private_seg_size, 0
	.set _ZN7rocprim17ROCPRIM_400000_NS6detail17trampoline_kernelINS0_14default_configENS1_25partition_config_selectorILNS1_17partition_subalgoE5EiNS0_10empty_typeEbEEZZNS1_14partition_implILS5_5ELb0ES3_mN6thrust23THRUST_200600_302600_NS17counting_iteratorIiNSA_11use_defaultESC_SC_EEPS6_NSA_18transform_iteratorINSA_8identityIiEENSA_6detail15normal_iteratorINSA_10device_ptrIiEEEESC_SC_EENS0_5tupleIJSM_S6_EEENSO_IJSE_SE_EEES6_PlJS6_EEE10hipError_tPvRmT3_T4_T5_T6_T7_T9_mT8_P12ihipStream_tbDpT10_ENKUlT_T0_E_clISt17integral_constantIbLb0EES1A_IbLb1EEEEDaS16_S17_EUlS16_E_NS1_11comp_targetILNS1_3genE8ELNS1_11target_archE1030ELNS1_3gpuE2ELNS1_3repE0EEENS1_30default_config_static_selectorELNS0_4arch9wavefront6targetE0EEEvT1_.uses_vcc, 0
	.set _ZN7rocprim17ROCPRIM_400000_NS6detail17trampoline_kernelINS0_14default_configENS1_25partition_config_selectorILNS1_17partition_subalgoE5EiNS0_10empty_typeEbEEZZNS1_14partition_implILS5_5ELb0ES3_mN6thrust23THRUST_200600_302600_NS17counting_iteratorIiNSA_11use_defaultESC_SC_EEPS6_NSA_18transform_iteratorINSA_8identityIiEENSA_6detail15normal_iteratorINSA_10device_ptrIiEEEESC_SC_EENS0_5tupleIJSM_S6_EEENSO_IJSE_SE_EEES6_PlJS6_EEE10hipError_tPvRmT3_T4_T5_T6_T7_T9_mT8_P12ihipStream_tbDpT10_ENKUlT_T0_E_clISt17integral_constantIbLb0EES1A_IbLb1EEEEDaS16_S17_EUlS16_E_NS1_11comp_targetILNS1_3genE8ELNS1_11target_archE1030ELNS1_3gpuE2ELNS1_3repE0EEENS1_30default_config_static_selectorELNS0_4arch9wavefront6targetE0EEEvT1_.uses_flat_scratch, 0
	.set _ZN7rocprim17ROCPRIM_400000_NS6detail17trampoline_kernelINS0_14default_configENS1_25partition_config_selectorILNS1_17partition_subalgoE5EiNS0_10empty_typeEbEEZZNS1_14partition_implILS5_5ELb0ES3_mN6thrust23THRUST_200600_302600_NS17counting_iteratorIiNSA_11use_defaultESC_SC_EEPS6_NSA_18transform_iteratorINSA_8identityIiEENSA_6detail15normal_iteratorINSA_10device_ptrIiEEEESC_SC_EENS0_5tupleIJSM_S6_EEENSO_IJSE_SE_EEES6_PlJS6_EEE10hipError_tPvRmT3_T4_T5_T6_T7_T9_mT8_P12ihipStream_tbDpT10_ENKUlT_T0_E_clISt17integral_constantIbLb0EES1A_IbLb1EEEEDaS16_S17_EUlS16_E_NS1_11comp_targetILNS1_3genE8ELNS1_11target_archE1030ELNS1_3gpuE2ELNS1_3repE0EEENS1_30default_config_static_selectorELNS0_4arch9wavefront6targetE0EEEvT1_.has_dyn_sized_stack, 0
	.set _ZN7rocprim17ROCPRIM_400000_NS6detail17trampoline_kernelINS0_14default_configENS1_25partition_config_selectorILNS1_17partition_subalgoE5EiNS0_10empty_typeEbEEZZNS1_14partition_implILS5_5ELb0ES3_mN6thrust23THRUST_200600_302600_NS17counting_iteratorIiNSA_11use_defaultESC_SC_EEPS6_NSA_18transform_iteratorINSA_8identityIiEENSA_6detail15normal_iteratorINSA_10device_ptrIiEEEESC_SC_EENS0_5tupleIJSM_S6_EEENSO_IJSE_SE_EEES6_PlJS6_EEE10hipError_tPvRmT3_T4_T5_T6_T7_T9_mT8_P12ihipStream_tbDpT10_ENKUlT_T0_E_clISt17integral_constantIbLb0EES1A_IbLb1EEEEDaS16_S17_EUlS16_E_NS1_11comp_targetILNS1_3genE8ELNS1_11target_archE1030ELNS1_3gpuE2ELNS1_3repE0EEENS1_30default_config_static_selectorELNS0_4arch9wavefront6targetE0EEEvT1_.has_recursion, 0
	.set _ZN7rocprim17ROCPRIM_400000_NS6detail17trampoline_kernelINS0_14default_configENS1_25partition_config_selectorILNS1_17partition_subalgoE5EiNS0_10empty_typeEbEEZZNS1_14partition_implILS5_5ELb0ES3_mN6thrust23THRUST_200600_302600_NS17counting_iteratorIiNSA_11use_defaultESC_SC_EEPS6_NSA_18transform_iteratorINSA_8identityIiEENSA_6detail15normal_iteratorINSA_10device_ptrIiEEEESC_SC_EENS0_5tupleIJSM_S6_EEENSO_IJSE_SE_EEES6_PlJS6_EEE10hipError_tPvRmT3_T4_T5_T6_T7_T9_mT8_P12ihipStream_tbDpT10_ENKUlT_T0_E_clISt17integral_constantIbLb0EES1A_IbLb1EEEEDaS16_S17_EUlS16_E_NS1_11comp_targetILNS1_3genE8ELNS1_11target_archE1030ELNS1_3gpuE2ELNS1_3repE0EEENS1_30default_config_static_selectorELNS0_4arch9wavefront6targetE0EEEvT1_.has_indirect_call, 0
	.section	.AMDGPU.csdata,"",@progbits
; Kernel info:
; codeLenInByte = 0
; TotalNumSgprs: 0
; NumVgprs: 0
; ScratchSize: 0
; MemoryBound: 0
; FloatMode: 240
; IeeeMode: 1
; LDSByteSize: 0 bytes/workgroup (compile time only)
; SGPRBlocks: 0
; VGPRBlocks: 0
; NumSGPRsForWavesPerEU: 1
; NumVGPRsForWavesPerEU: 1
; Occupancy: 16
; WaveLimiterHint : 0
; COMPUTE_PGM_RSRC2:SCRATCH_EN: 0
; COMPUTE_PGM_RSRC2:USER_SGPR: 2
; COMPUTE_PGM_RSRC2:TRAP_HANDLER: 0
; COMPUTE_PGM_RSRC2:TGID_X_EN: 1
; COMPUTE_PGM_RSRC2:TGID_Y_EN: 0
; COMPUTE_PGM_RSRC2:TGID_Z_EN: 0
; COMPUTE_PGM_RSRC2:TIDIG_COMP_CNT: 0
	.section	.text._ZN6thrust23THRUST_200600_302600_NS11hip_rocprim14__parallel_for6kernelILj256ENS1_20__uninitialized_copy7functorINS0_6detail15normal_iteratorINS0_10device_ptrIiEEEENS0_7pointerIiNS1_3tagENS0_11use_defaultESD_EEEEmLj1EEEvT0_T1_SH_,"axG",@progbits,_ZN6thrust23THRUST_200600_302600_NS11hip_rocprim14__parallel_for6kernelILj256ENS1_20__uninitialized_copy7functorINS0_6detail15normal_iteratorINS0_10device_ptrIiEEEENS0_7pointerIiNS1_3tagENS0_11use_defaultESD_EEEEmLj1EEEvT0_T1_SH_,comdat
	.protected	_ZN6thrust23THRUST_200600_302600_NS11hip_rocprim14__parallel_for6kernelILj256ENS1_20__uninitialized_copy7functorINS0_6detail15normal_iteratorINS0_10device_ptrIiEEEENS0_7pointerIiNS1_3tagENS0_11use_defaultESD_EEEEmLj1EEEvT0_T1_SH_ ; -- Begin function _ZN6thrust23THRUST_200600_302600_NS11hip_rocprim14__parallel_for6kernelILj256ENS1_20__uninitialized_copy7functorINS0_6detail15normal_iteratorINS0_10device_ptrIiEEEENS0_7pointerIiNS1_3tagENS0_11use_defaultESD_EEEEmLj1EEEvT0_T1_SH_
	.globl	_ZN6thrust23THRUST_200600_302600_NS11hip_rocprim14__parallel_for6kernelILj256ENS1_20__uninitialized_copy7functorINS0_6detail15normal_iteratorINS0_10device_ptrIiEEEENS0_7pointerIiNS1_3tagENS0_11use_defaultESD_EEEEmLj1EEEvT0_T1_SH_
	.p2align	8
	.type	_ZN6thrust23THRUST_200600_302600_NS11hip_rocprim14__parallel_for6kernelILj256ENS1_20__uninitialized_copy7functorINS0_6detail15normal_iteratorINS0_10device_ptrIiEEEENS0_7pointerIiNS1_3tagENS0_11use_defaultESD_EEEEmLj1EEEvT0_T1_SH_,@function
_ZN6thrust23THRUST_200600_302600_NS11hip_rocprim14__parallel_for6kernelILj256ENS1_20__uninitialized_copy7functorINS0_6detail15normal_iteratorINS0_10device_ptrIiEEEENS0_7pointerIiNS1_3tagENS0_11use_defaultESD_EEEEmLj1EEEvT0_T1_SH_: ; @_ZN6thrust23THRUST_200600_302600_NS11hip_rocprim14__parallel_for6kernelILj256ENS1_20__uninitialized_copy7functorINS0_6detail15normal_iteratorINS0_10device_ptrIiEEEENS0_7pointerIiNS1_3tagENS0_11use_defaultESD_EEEEmLj1EEEvT0_T1_SH_
; %bb.0:
	s_load_b256 s[0:7], s[0:1], 0x0
	s_lshl_b32 s8, ttmp9, 8
	s_mov_b32 s9, 0
	s_wait_kmcnt 0x0
	s_add_nc_u64 s[6:7], s[6:7], s[8:9]
	s_delay_alu instid0(SALU_CYCLE_1) | instskip(NEXT) | instid1(SALU_CYCLE_1)
	s_sub_nc_u64 s[4:5], s[4:5], s[6:7]
	v_cmp_lt_u64_e64 s5, 0xff, s[4:5]
	s_and_b32 vcc_lo, exec_lo, s5
	s_mov_b32 s5, -1
	s_cbranch_vccz .LBB45_3
; %bb.1:
	s_wait_alu 0xfffe
	s_and_not1_b32 vcc_lo, exec_lo, s5
	s_cbranch_vccz .LBB45_6
.LBB45_2:
	s_endpgm
.LBB45_3:
	v_cmp_gt_u32_e32 vcc_lo, s4, v0
	s_and_saveexec_b32 s4, vcc_lo
	s_cbranch_execz .LBB45_5
; %bb.4:
	v_add_co_u32 v1, s5, s6, v0
	s_wait_alu 0xf1fe
	v_add_co_ci_u32_e64 v2, null, s7, 0, s5
	s_delay_alu instid0(VALU_DEP_1) | instskip(NEXT) | instid1(VALU_DEP_1)
	v_lshlrev_b64_e32 v[1:2], 2, v[1:2]
	v_add_co_u32 v3, vcc_lo, s0, v1
	s_delay_alu instid0(VALU_DEP_1)
	v_add_co_ci_u32_e64 v4, null, s1, v2, vcc_lo
	v_add_co_u32 v1, vcc_lo, s2, v1
	s_wait_alu 0xfffd
	v_add_co_ci_u32_e64 v2, null, s3, v2, vcc_lo
	flat_load_b32 v3, v[3:4]
	s_wait_loadcnt_dscnt 0x0
	flat_store_b32 v[1:2], v3
.LBB45_5:
	s_wait_alu 0xfffe
	s_or_b32 exec_lo, exec_lo, s4
	s_cbranch_execnz .LBB45_2
.LBB45_6:
	v_add_co_u32 v0, s4, s6, v0
	s_wait_alu 0xf1ff
	v_add_co_ci_u32_e64 v1, null, s7, 0, s4
	s_delay_alu instid0(VALU_DEP_1) | instskip(NEXT) | instid1(VALU_DEP_1)
	v_lshlrev_b64_e32 v[0:1], 2, v[0:1]
	v_add_co_u32 v2, vcc_lo, s0, v0
	s_wait_alu 0xfffd
	s_delay_alu instid0(VALU_DEP_2)
	v_add_co_ci_u32_e64 v3, null, s1, v1, vcc_lo
	v_add_co_u32 v0, vcc_lo, s2, v0
	s_wait_alu 0xfffd
	v_add_co_ci_u32_e64 v1, null, s3, v1, vcc_lo
	flat_load_b32 v2, v[2:3]
	s_wait_loadcnt_dscnt 0x0
	flat_store_b32 v[0:1], v2
	s_endpgm
	.section	.rodata,"a",@progbits
	.p2align	6, 0x0
	.amdhsa_kernel _ZN6thrust23THRUST_200600_302600_NS11hip_rocprim14__parallel_for6kernelILj256ENS1_20__uninitialized_copy7functorINS0_6detail15normal_iteratorINS0_10device_ptrIiEEEENS0_7pointerIiNS1_3tagENS0_11use_defaultESD_EEEEmLj1EEEvT0_T1_SH_
		.amdhsa_group_segment_fixed_size 0
		.amdhsa_private_segment_fixed_size 0
		.amdhsa_kernarg_size 32
		.amdhsa_user_sgpr_count 2
		.amdhsa_user_sgpr_dispatch_ptr 0
		.amdhsa_user_sgpr_queue_ptr 0
		.amdhsa_user_sgpr_kernarg_segment_ptr 1
		.amdhsa_user_sgpr_dispatch_id 0
		.amdhsa_user_sgpr_private_segment_size 0
		.amdhsa_wavefront_size32 1
		.amdhsa_uses_dynamic_stack 0
		.amdhsa_enable_private_segment 0
		.amdhsa_system_sgpr_workgroup_id_x 1
		.amdhsa_system_sgpr_workgroup_id_y 0
		.amdhsa_system_sgpr_workgroup_id_z 0
		.amdhsa_system_sgpr_workgroup_info 0
		.amdhsa_system_vgpr_workitem_id 0
		.amdhsa_next_free_vgpr 5
		.amdhsa_next_free_sgpr 10
		.amdhsa_reserve_vcc 1
		.amdhsa_float_round_mode_32 0
		.amdhsa_float_round_mode_16_64 0
		.amdhsa_float_denorm_mode_32 3
		.amdhsa_float_denorm_mode_16_64 3
		.amdhsa_fp16_overflow 0
		.amdhsa_workgroup_processor_mode 1
		.amdhsa_memory_ordered 1
		.amdhsa_forward_progress 1
		.amdhsa_inst_pref_size 3
		.amdhsa_round_robin_scheduling 0
		.amdhsa_exception_fp_ieee_invalid_op 0
		.amdhsa_exception_fp_denorm_src 0
		.amdhsa_exception_fp_ieee_div_zero 0
		.amdhsa_exception_fp_ieee_overflow 0
		.amdhsa_exception_fp_ieee_underflow 0
		.amdhsa_exception_fp_ieee_inexact 0
		.amdhsa_exception_int_div_zero 0
	.end_amdhsa_kernel
	.section	.text._ZN6thrust23THRUST_200600_302600_NS11hip_rocprim14__parallel_for6kernelILj256ENS1_20__uninitialized_copy7functorINS0_6detail15normal_iteratorINS0_10device_ptrIiEEEENS0_7pointerIiNS1_3tagENS0_11use_defaultESD_EEEEmLj1EEEvT0_T1_SH_,"axG",@progbits,_ZN6thrust23THRUST_200600_302600_NS11hip_rocprim14__parallel_for6kernelILj256ENS1_20__uninitialized_copy7functorINS0_6detail15normal_iteratorINS0_10device_ptrIiEEEENS0_7pointerIiNS1_3tagENS0_11use_defaultESD_EEEEmLj1EEEvT0_T1_SH_,comdat
.Lfunc_end45:
	.size	_ZN6thrust23THRUST_200600_302600_NS11hip_rocprim14__parallel_for6kernelILj256ENS1_20__uninitialized_copy7functorINS0_6detail15normal_iteratorINS0_10device_ptrIiEEEENS0_7pointerIiNS1_3tagENS0_11use_defaultESD_EEEEmLj1EEEvT0_T1_SH_, .Lfunc_end45-_ZN6thrust23THRUST_200600_302600_NS11hip_rocprim14__parallel_for6kernelILj256ENS1_20__uninitialized_copy7functorINS0_6detail15normal_iteratorINS0_10device_ptrIiEEEENS0_7pointerIiNS1_3tagENS0_11use_defaultESD_EEEEmLj1EEEvT0_T1_SH_
                                        ; -- End function
	.set _ZN6thrust23THRUST_200600_302600_NS11hip_rocprim14__parallel_for6kernelILj256ENS1_20__uninitialized_copy7functorINS0_6detail15normal_iteratorINS0_10device_ptrIiEEEENS0_7pointerIiNS1_3tagENS0_11use_defaultESD_EEEEmLj1EEEvT0_T1_SH_.num_vgpr, 5
	.set _ZN6thrust23THRUST_200600_302600_NS11hip_rocprim14__parallel_for6kernelILj256ENS1_20__uninitialized_copy7functorINS0_6detail15normal_iteratorINS0_10device_ptrIiEEEENS0_7pointerIiNS1_3tagENS0_11use_defaultESD_EEEEmLj1EEEvT0_T1_SH_.num_agpr, 0
	.set _ZN6thrust23THRUST_200600_302600_NS11hip_rocprim14__parallel_for6kernelILj256ENS1_20__uninitialized_copy7functorINS0_6detail15normal_iteratorINS0_10device_ptrIiEEEENS0_7pointerIiNS1_3tagENS0_11use_defaultESD_EEEEmLj1EEEvT0_T1_SH_.numbered_sgpr, 10
	.set _ZN6thrust23THRUST_200600_302600_NS11hip_rocprim14__parallel_for6kernelILj256ENS1_20__uninitialized_copy7functorINS0_6detail15normal_iteratorINS0_10device_ptrIiEEEENS0_7pointerIiNS1_3tagENS0_11use_defaultESD_EEEEmLj1EEEvT0_T1_SH_.num_named_barrier, 0
	.set _ZN6thrust23THRUST_200600_302600_NS11hip_rocprim14__parallel_for6kernelILj256ENS1_20__uninitialized_copy7functorINS0_6detail15normal_iteratorINS0_10device_ptrIiEEEENS0_7pointerIiNS1_3tagENS0_11use_defaultESD_EEEEmLj1EEEvT0_T1_SH_.private_seg_size, 0
	.set _ZN6thrust23THRUST_200600_302600_NS11hip_rocprim14__parallel_for6kernelILj256ENS1_20__uninitialized_copy7functorINS0_6detail15normal_iteratorINS0_10device_ptrIiEEEENS0_7pointerIiNS1_3tagENS0_11use_defaultESD_EEEEmLj1EEEvT0_T1_SH_.uses_vcc, 1
	.set _ZN6thrust23THRUST_200600_302600_NS11hip_rocprim14__parallel_for6kernelILj256ENS1_20__uninitialized_copy7functorINS0_6detail15normal_iteratorINS0_10device_ptrIiEEEENS0_7pointerIiNS1_3tagENS0_11use_defaultESD_EEEEmLj1EEEvT0_T1_SH_.uses_flat_scratch, 0
	.set _ZN6thrust23THRUST_200600_302600_NS11hip_rocprim14__parallel_for6kernelILj256ENS1_20__uninitialized_copy7functorINS0_6detail15normal_iteratorINS0_10device_ptrIiEEEENS0_7pointerIiNS1_3tagENS0_11use_defaultESD_EEEEmLj1EEEvT0_T1_SH_.has_dyn_sized_stack, 0
	.set _ZN6thrust23THRUST_200600_302600_NS11hip_rocprim14__parallel_for6kernelILj256ENS1_20__uninitialized_copy7functorINS0_6detail15normal_iteratorINS0_10device_ptrIiEEEENS0_7pointerIiNS1_3tagENS0_11use_defaultESD_EEEEmLj1EEEvT0_T1_SH_.has_recursion, 0
	.set _ZN6thrust23THRUST_200600_302600_NS11hip_rocprim14__parallel_for6kernelILj256ENS1_20__uninitialized_copy7functorINS0_6detail15normal_iteratorINS0_10device_ptrIiEEEENS0_7pointerIiNS1_3tagENS0_11use_defaultESD_EEEEmLj1EEEvT0_T1_SH_.has_indirect_call, 0
	.section	.AMDGPU.csdata,"",@progbits
; Kernel info:
; codeLenInByte = 296
; TotalNumSgprs: 12
; NumVgprs: 5
; ScratchSize: 0
; MemoryBound: 0
; FloatMode: 240
; IeeeMode: 1
; LDSByteSize: 0 bytes/workgroup (compile time only)
; SGPRBlocks: 0
; VGPRBlocks: 0
; NumSGPRsForWavesPerEU: 12
; NumVGPRsForWavesPerEU: 5
; Occupancy: 16
; WaveLimiterHint : 0
; COMPUTE_PGM_RSRC2:SCRATCH_EN: 0
; COMPUTE_PGM_RSRC2:USER_SGPR: 2
; COMPUTE_PGM_RSRC2:TRAP_HANDLER: 0
; COMPUTE_PGM_RSRC2:TGID_X_EN: 1
; COMPUTE_PGM_RSRC2:TGID_Y_EN: 0
; COMPUTE_PGM_RSRC2:TGID_Z_EN: 0
; COMPUTE_PGM_RSRC2:TIDIG_COMP_CNT: 0
	.section	.AMDGPU.gpr_maximums,"",@progbits
	.set amdgpu.max_num_vgpr, 0
	.set amdgpu.max_num_agpr, 0
	.set amdgpu.max_num_sgpr, 0
	.section	.AMDGPU.csdata,"",@progbits
	.type	__hip_cuid_b810486f0f1e1eaa,@object ; @__hip_cuid_b810486f0f1e1eaa
	.section	.bss,"aw",@nobits
	.globl	__hip_cuid_b810486f0f1e1eaa
__hip_cuid_b810486f0f1e1eaa:
	.byte	0                               ; 0x0
	.size	__hip_cuid_b810486f0f1e1eaa, 1

	.ident	"AMD clang version 22.0.0git (https://github.com/RadeonOpenCompute/llvm-project roc-7.2.4 26084 f58b06dce1f9c15707c5f808fd002e18c2accf7e)"
	.section	".note.GNU-stack","",@progbits
	.addrsig
	.addrsig_sym __hip_cuid_b810486f0f1e1eaa
	.amdgpu_metadata
---
amdhsa.kernels:
  - .args:
      - .offset:         0
        .size:           16
        .value_kind:     by_value
      - .offset:         16
        .size:           8
        .value_kind:     by_value
      - .offset:         24
        .size:           8
        .value_kind:     by_value
    .group_segment_fixed_size: 0
    .kernarg_segment_align: 8
    .kernarg_segment_size: 32
    .language:       OpenCL C
    .language_version:
      - 2
      - 0
    .max_flat_workgroup_size: 256
    .name:           _ZN6thrust23THRUST_200600_302600_NS11hip_rocprim14__parallel_for6kernelILj256ENS1_20__uninitialized_fill7functorINS0_10device_ptrIiEEiEEmLj1EEEvT0_T1_SA_
    .private_segment_fixed_size: 0
    .sgpr_count:     14
    .sgpr_spill_count: 0
    .symbol:         _ZN6thrust23THRUST_200600_302600_NS11hip_rocprim14__parallel_for6kernelILj256ENS1_20__uninitialized_fill7functorINS0_10device_ptrIiEEiEEmLj1EEEvT0_T1_SA_.kd
    .uniform_work_group_size: 1
    .uses_dynamic_stack: false
    .vgpr_count:     4
    .vgpr_spill_count: 0
    .wavefront_size: 32
    .workgroup_processor_mode: 1
  - .args:
      - .address_space:  global
        .offset:         0
        .size:           8
        .value_kind:     global_buffer
      - .offset:         8
        .size:           4
        .value_kind:     by_value
      - .offset:         12
        .size:           1
        .value_kind:     by_value
      - .offset:         16
        .size:           4
        .value_kind:     by_value
      - .address_space:  global
        .offset:         24
        .size:           8
        .value_kind:     global_buffer
      - .offset:         32
        .size:           4
        .value_kind:     hidden_block_count_x
      - .offset:         36
        .size:           4
        .value_kind:     hidden_block_count_y
      - .offset:         40
        .size:           4
        .value_kind:     hidden_block_count_z
      - .offset:         44
        .size:           2
        .value_kind:     hidden_group_size_x
      - .offset:         46
        .size:           2
        .value_kind:     hidden_group_size_y
      - .offset:         48
        .size:           2
        .value_kind:     hidden_group_size_z
      - .offset:         50
        .size:           2
        .value_kind:     hidden_remainder_x
      - .offset:         52
        .size:           2
        .value_kind:     hidden_remainder_y
      - .offset:         54
        .size:           2
        .value_kind:     hidden_remainder_z
      - .offset:         72
        .size:           8
        .value_kind:     hidden_global_offset_x
      - .offset:         80
        .size:           8
        .value_kind:     hidden_global_offset_y
      - .offset:         88
        .size:           8
        .value_kind:     hidden_global_offset_z
      - .offset:         96
        .size:           2
        .value_kind:     hidden_grid_dims
    .group_segment_fixed_size: 0
    .kernarg_segment_align: 8
    .kernarg_segment_size: 288
    .language:       OpenCL C
    .language_version:
      - 2
      - 0
    .max_flat_workgroup_size: 256
    .name:           _ZN7rocprim17ROCPRIM_400000_NS6detail31init_lookback_scan_state_kernelINS1_19lookback_scan_stateImLb0ELb1EEENS1_16block_id_wrapperIjLb0EEEEEvT_jT0_jPNS7_10value_typeE
    .private_segment_fixed_size: 0
    .sgpr_count:     11
    .sgpr_spill_count: 0
    .symbol:         _ZN7rocprim17ROCPRIM_400000_NS6detail31init_lookback_scan_state_kernelINS1_19lookback_scan_stateImLb0ELb1EEENS1_16block_id_wrapperIjLb0EEEEEvT_jT0_jPNS7_10value_typeE.kd
    .uniform_work_group_size: 1
    .uses_dynamic_stack: false
    .vgpr_count:     8
    .vgpr_spill_count: 0
    .wavefront_size: 32
    .workgroup_processor_mode: 1
  - .args:
      - .offset:         0
        .size:           120
        .value_kind:     by_value
    .group_segment_fixed_size: 0
    .kernarg_segment_align: 8
    .kernarg_segment_size: 120
    .language:       OpenCL C
    .language_version:
      - 2
      - 0
    .max_flat_workgroup_size: 512
    .name:           _ZN7rocprim17ROCPRIM_400000_NS6detail17trampoline_kernelINS0_14default_configENS1_25partition_config_selectorILNS1_17partition_subalgoE5EiNS0_10empty_typeEbEEZZNS1_14partition_implILS5_5ELb0ES3_mN6thrust23THRUST_200600_302600_NS17counting_iteratorIiNSA_11use_defaultESC_SC_EEPS6_NSA_18transform_iteratorINSA_8identityIiEENSA_6detail15normal_iteratorINSA_10device_ptrIiEEEESC_SC_EENS0_5tupleIJSM_S6_EEENSO_IJSE_SE_EEES6_PlJS6_EEE10hipError_tPvRmT3_T4_T5_T6_T7_T9_mT8_P12ihipStream_tbDpT10_ENKUlT_T0_E_clISt17integral_constantIbLb0EES1B_EEDaS16_S17_EUlS16_E_NS1_11comp_targetILNS1_3genE0ELNS1_11target_archE4294967295ELNS1_3gpuE0ELNS1_3repE0EEENS1_30default_config_static_selectorELNS0_4arch9wavefront6targetE0EEEvT1_
    .private_segment_fixed_size: 0
    .sgpr_count:     0
    .sgpr_spill_count: 0
    .symbol:         _ZN7rocprim17ROCPRIM_400000_NS6detail17trampoline_kernelINS0_14default_configENS1_25partition_config_selectorILNS1_17partition_subalgoE5EiNS0_10empty_typeEbEEZZNS1_14partition_implILS5_5ELb0ES3_mN6thrust23THRUST_200600_302600_NS17counting_iteratorIiNSA_11use_defaultESC_SC_EEPS6_NSA_18transform_iteratorINSA_8identityIiEENSA_6detail15normal_iteratorINSA_10device_ptrIiEEEESC_SC_EENS0_5tupleIJSM_S6_EEENSO_IJSE_SE_EEES6_PlJS6_EEE10hipError_tPvRmT3_T4_T5_T6_T7_T9_mT8_P12ihipStream_tbDpT10_ENKUlT_T0_E_clISt17integral_constantIbLb0EES1B_EEDaS16_S17_EUlS16_E_NS1_11comp_targetILNS1_3genE0ELNS1_11target_archE4294967295ELNS1_3gpuE0ELNS1_3repE0EEENS1_30default_config_static_selectorELNS0_4arch9wavefront6targetE0EEEvT1_.kd
    .uniform_work_group_size: 1
    .uses_dynamic_stack: false
    .vgpr_count:     0
    .vgpr_spill_count: 0
    .wavefront_size: 32
    .workgroup_processor_mode: 1
  - .args:
      - .offset:         0
        .size:           120
        .value_kind:     by_value
    .group_segment_fixed_size: 0
    .kernarg_segment_align: 8
    .kernarg_segment_size: 120
    .language:       OpenCL C
    .language_version:
      - 2
      - 0
    .max_flat_workgroup_size: 512
    .name:           _ZN7rocprim17ROCPRIM_400000_NS6detail17trampoline_kernelINS0_14default_configENS1_25partition_config_selectorILNS1_17partition_subalgoE5EiNS0_10empty_typeEbEEZZNS1_14partition_implILS5_5ELb0ES3_mN6thrust23THRUST_200600_302600_NS17counting_iteratorIiNSA_11use_defaultESC_SC_EEPS6_NSA_18transform_iteratorINSA_8identityIiEENSA_6detail15normal_iteratorINSA_10device_ptrIiEEEESC_SC_EENS0_5tupleIJSM_S6_EEENSO_IJSE_SE_EEES6_PlJS6_EEE10hipError_tPvRmT3_T4_T5_T6_T7_T9_mT8_P12ihipStream_tbDpT10_ENKUlT_T0_E_clISt17integral_constantIbLb0EES1B_EEDaS16_S17_EUlS16_E_NS1_11comp_targetILNS1_3genE5ELNS1_11target_archE942ELNS1_3gpuE9ELNS1_3repE0EEENS1_30default_config_static_selectorELNS0_4arch9wavefront6targetE0EEEvT1_
    .private_segment_fixed_size: 0
    .sgpr_count:     0
    .sgpr_spill_count: 0
    .symbol:         _ZN7rocprim17ROCPRIM_400000_NS6detail17trampoline_kernelINS0_14default_configENS1_25partition_config_selectorILNS1_17partition_subalgoE5EiNS0_10empty_typeEbEEZZNS1_14partition_implILS5_5ELb0ES3_mN6thrust23THRUST_200600_302600_NS17counting_iteratorIiNSA_11use_defaultESC_SC_EEPS6_NSA_18transform_iteratorINSA_8identityIiEENSA_6detail15normal_iteratorINSA_10device_ptrIiEEEESC_SC_EENS0_5tupleIJSM_S6_EEENSO_IJSE_SE_EEES6_PlJS6_EEE10hipError_tPvRmT3_T4_T5_T6_T7_T9_mT8_P12ihipStream_tbDpT10_ENKUlT_T0_E_clISt17integral_constantIbLb0EES1B_EEDaS16_S17_EUlS16_E_NS1_11comp_targetILNS1_3genE5ELNS1_11target_archE942ELNS1_3gpuE9ELNS1_3repE0EEENS1_30default_config_static_selectorELNS0_4arch9wavefront6targetE0EEEvT1_.kd
    .uniform_work_group_size: 1
    .uses_dynamic_stack: false
    .vgpr_count:     0
    .vgpr_spill_count: 0
    .wavefront_size: 32
    .workgroup_processor_mode: 1
  - .args:
      - .offset:         0
        .size:           120
        .value_kind:     by_value
    .group_segment_fixed_size: 0
    .kernarg_segment_align: 8
    .kernarg_segment_size: 120
    .language:       OpenCL C
    .language_version:
      - 2
      - 0
    .max_flat_workgroup_size: 256
    .name:           _ZN7rocprim17ROCPRIM_400000_NS6detail17trampoline_kernelINS0_14default_configENS1_25partition_config_selectorILNS1_17partition_subalgoE5EiNS0_10empty_typeEbEEZZNS1_14partition_implILS5_5ELb0ES3_mN6thrust23THRUST_200600_302600_NS17counting_iteratorIiNSA_11use_defaultESC_SC_EEPS6_NSA_18transform_iteratorINSA_8identityIiEENSA_6detail15normal_iteratorINSA_10device_ptrIiEEEESC_SC_EENS0_5tupleIJSM_S6_EEENSO_IJSE_SE_EEES6_PlJS6_EEE10hipError_tPvRmT3_T4_T5_T6_T7_T9_mT8_P12ihipStream_tbDpT10_ENKUlT_T0_E_clISt17integral_constantIbLb0EES1B_EEDaS16_S17_EUlS16_E_NS1_11comp_targetILNS1_3genE4ELNS1_11target_archE910ELNS1_3gpuE8ELNS1_3repE0EEENS1_30default_config_static_selectorELNS0_4arch9wavefront6targetE0EEEvT1_
    .private_segment_fixed_size: 0
    .sgpr_count:     0
    .sgpr_spill_count: 0
    .symbol:         _ZN7rocprim17ROCPRIM_400000_NS6detail17trampoline_kernelINS0_14default_configENS1_25partition_config_selectorILNS1_17partition_subalgoE5EiNS0_10empty_typeEbEEZZNS1_14partition_implILS5_5ELb0ES3_mN6thrust23THRUST_200600_302600_NS17counting_iteratorIiNSA_11use_defaultESC_SC_EEPS6_NSA_18transform_iteratorINSA_8identityIiEENSA_6detail15normal_iteratorINSA_10device_ptrIiEEEESC_SC_EENS0_5tupleIJSM_S6_EEENSO_IJSE_SE_EEES6_PlJS6_EEE10hipError_tPvRmT3_T4_T5_T6_T7_T9_mT8_P12ihipStream_tbDpT10_ENKUlT_T0_E_clISt17integral_constantIbLb0EES1B_EEDaS16_S17_EUlS16_E_NS1_11comp_targetILNS1_3genE4ELNS1_11target_archE910ELNS1_3gpuE8ELNS1_3repE0EEENS1_30default_config_static_selectorELNS0_4arch9wavefront6targetE0EEEvT1_.kd
    .uniform_work_group_size: 1
    .uses_dynamic_stack: false
    .vgpr_count:     0
    .vgpr_spill_count: 0
    .wavefront_size: 32
    .workgroup_processor_mode: 1
  - .args:
      - .offset:         0
        .size:           120
        .value_kind:     by_value
    .group_segment_fixed_size: 0
    .kernarg_segment_align: 8
    .kernarg_segment_size: 120
    .language:       OpenCL C
    .language_version:
      - 2
      - 0
    .max_flat_workgroup_size: 512
    .name:           _ZN7rocprim17ROCPRIM_400000_NS6detail17trampoline_kernelINS0_14default_configENS1_25partition_config_selectorILNS1_17partition_subalgoE5EiNS0_10empty_typeEbEEZZNS1_14partition_implILS5_5ELb0ES3_mN6thrust23THRUST_200600_302600_NS17counting_iteratorIiNSA_11use_defaultESC_SC_EEPS6_NSA_18transform_iteratorINSA_8identityIiEENSA_6detail15normal_iteratorINSA_10device_ptrIiEEEESC_SC_EENS0_5tupleIJSM_S6_EEENSO_IJSE_SE_EEES6_PlJS6_EEE10hipError_tPvRmT3_T4_T5_T6_T7_T9_mT8_P12ihipStream_tbDpT10_ENKUlT_T0_E_clISt17integral_constantIbLb0EES1B_EEDaS16_S17_EUlS16_E_NS1_11comp_targetILNS1_3genE3ELNS1_11target_archE908ELNS1_3gpuE7ELNS1_3repE0EEENS1_30default_config_static_selectorELNS0_4arch9wavefront6targetE0EEEvT1_
    .private_segment_fixed_size: 0
    .sgpr_count:     0
    .sgpr_spill_count: 0
    .symbol:         _ZN7rocprim17ROCPRIM_400000_NS6detail17trampoline_kernelINS0_14default_configENS1_25partition_config_selectorILNS1_17partition_subalgoE5EiNS0_10empty_typeEbEEZZNS1_14partition_implILS5_5ELb0ES3_mN6thrust23THRUST_200600_302600_NS17counting_iteratorIiNSA_11use_defaultESC_SC_EEPS6_NSA_18transform_iteratorINSA_8identityIiEENSA_6detail15normal_iteratorINSA_10device_ptrIiEEEESC_SC_EENS0_5tupleIJSM_S6_EEENSO_IJSE_SE_EEES6_PlJS6_EEE10hipError_tPvRmT3_T4_T5_T6_T7_T9_mT8_P12ihipStream_tbDpT10_ENKUlT_T0_E_clISt17integral_constantIbLb0EES1B_EEDaS16_S17_EUlS16_E_NS1_11comp_targetILNS1_3genE3ELNS1_11target_archE908ELNS1_3gpuE7ELNS1_3repE0EEENS1_30default_config_static_selectorELNS0_4arch9wavefront6targetE0EEEvT1_.kd
    .uniform_work_group_size: 1
    .uses_dynamic_stack: false
    .vgpr_count:     0
    .vgpr_spill_count: 0
    .wavefront_size: 32
    .workgroup_processor_mode: 1
  - .args:
      - .offset:         0
        .size:           120
        .value_kind:     by_value
    .group_segment_fixed_size: 0
    .kernarg_segment_align: 8
    .kernarg_segment_size: 120
    .language:       OpenCL C
    .language_version:
      - 2
      - 0
    .max_flat_workgroup_size: 256
    .name:           _ZN7rocprim17ROCPRIM_400000_NS6detail17trampoline_kernelINS0_14default_configENS1_25partition_config_selectorILNS1_17partition_subalgoE5EiNS0_10empty_typeEbEEZZNS1_14partition_implILS5_5ELb0ES3_mN6thrust23THRUST_200600_302600_NS17counting_iteratorIiNSA_11use_defaultESC_SC_EEPS6_NSA_18transform_iteratorINSA_8identityIiEENSA_6detail15normal_iteratorINSA_10device_ptrIiEEEESC_SC_EENS0_5tupleIJSM_S6_EEENSO_IJSE_SE_EEES6_PlJS6_EEE10hipError_tPvRmT3_T4_T5_T6_T7_T9_mT8_P12ihipStream_tbDpT10_ENKUlT_T0_E_clISt17integral_constantIbLb0EES1B_EEDaS16_S17_EUlS16_E_NS1_11comp_targetILNS1_3genE2ELNS1_11target_archE906ELNS1_3gpuE6ELNS1_3repE0EEENS1_30default_config_static_selectorELNS0_4arch9wavefront6targetE0EEEvT1_
    .private_segment_fixed_size: 0
    .sgpr_count:     0
    .sgpr_spill_count: 0
    .symbol:         _ZN7rocprim17ROCPRIM_400000_NS6detail17trampoline_kernelINS0_14default_configENS1_25partition_config_selectorILNS1_17partition_subalgoE5EiNS0_10empty_typeEbEEZZNS1_14partition_implILS5_5ELb0ES3_mN6thrust23THRUST_200600_302600_NS17counting_iteratorIiNSA_11use_defaultESC_SC_EEPS6_NSA_18transform_iteratorINSA_8identityIiEENSA_6detail15normal_iteratorINSA_10device_ptrIiEEEESC_SC_EENS0_5tupleIJSM_S6_EEENSO_IJSE_SE_EEES6_PlJS6_EEE10hipError_tPvRmT3_T4_T5_T6_T7_T9_mT8_P12ihipStream_tbDpT10_ENKUlT_T0_E_clISt17integral_constantIbLb0EES1B_EEDaS16_S17_EUlS16_E_NS1_11comp_targetILNS1_3genE2ELNS1_11target_archE906ELNS1_3gpuE6ELNS1_3repE0EEENS1_30default_config_static_selectorELNS0_4arch9wavefront6targetE0EEEvT1_.kd
    .uniform_work_group_size: 1
    .uses_dynamic_stack: false
    .vgpr_count:     0
    .vgpr_spill_count: 0
    .wavefront_size: 32
    .workgroup_processor_mode: 1
  - .args:
      - .offset:         0
        .size:           120
        .value_kind:     by_value
    .group_segment_fixed_size: 6352
    .kernarg_segment_align: 8
    .kernarg_segment_size: 120
    .language:       OpenCL C
    .language_version:
      - 2
      - 0
    .max_flat_workgroup_size: 192
    .name:           _ZN7rocprim17ROCPRIM_400000_NS6detail17trampoline_kernelINS0_14default_configENS1_25partition_config_selectorILNS1_17partition_subalgoE5EiNS0_10empty_typeEbEEZZNS1_14partition_implILS5_5ELb0ES3_mN6thrust23THRUST_200600_302600_NS17counting_iteratorIiNSA_11use_defaultESC_SC_EEPS6_NSA_18transform_iteratorINSA_8identityIiEENSA_6detail15normal_iteratorINSA_10device_ptrIiEEEESC_SC_EENS0_5tupleIJSM_S6_EEENSO_IJSE_SE_EEES6_PlJS6_EEE10hipError_tPvRmT3_T4_T5_T6_T7_T9_mT8_P12ihipStream_tbDpT10_ENKUlT_T0_E_clISt17integral_constantIbLb0EES1B_EEDaS16_S17_EUlS16_E_NS1_11comp_targetILNS1_3genE10ELNS1_11target_archE1200ELNS1_3gpuE4ELNS1_3repE0EEENS1_30default_config_static_selectorELNS0_4arch9wavefront6targetE0EEEvT1_
    .private_segment_fixed_size: 0
    .sgpr_count:     20
    .sgpr_spill_count: 0
    .symbol:         _ZN7rocprim17ROCPRIM_400000_NS6detail17trampoline_kernelINS0_14default_configENS1_25partition_config_selectorILNS1_17partition_subalgoE5EiNS0_10empty_typeEbEEZZNS1_14partition_implILS5_5ELb0ES3_mN6thrust23THRUST_200600_302600_NS17counting_iteratorIiNSA_11use_defaultESC_SC_EEPS6_NSA_18transform_iteratorINSA_8identityIiEENSA_6detail15normal_iteratorINSA_10device_ptrIiEEEESC_SC_EENS0_5tupleIJSM_S6_EEENSO_IJSE_SE_EEES6_PlJS6_EEE10hipError_tPvRmT3_T4_T5_T6_T7_T9_mT8_P12ihipStream_tbDpT10_ENKUlT_T0_E_clISt17integral_constantIbLb0EES1B_EEDaS16_S17_EUlS16_E_NS1_11comp_targetILNS1_3genE10ELNS1_11target_archE1200ELNS1_3gpuE4ELNS1_3repE0EEENS1_30default_config_static_selectorELNS0_4arch9wavefront6targetE0EEEvT1_.kd
    .uniform_work_group_size: 1
    .uses_dynamic_stack: false
    .vgpr_count:     52
    .vgpr_spill_count: 0
    .wavefront_size: 32
    .workgroup_processor_mode: 1
  - .args:
      - .offset:         0
        .size:           120
        .value_kind:     by_value
    .group_segment_fixed_size: 0
    .kernarg_segment_align: 8
    .kernarg_segment_size: 120
    .language:       OpenCL C
    .language_version:
      - 2
      - 0
    .max_flat_workgroup_size: 128
    .name:           _ZN7rocprim17ROCPRIM_400000_NS6detail17trampoline_kernelINS0_14default_configENS1_25partition_config_selectorILNS1_17partition_subalgoE5EiNS0_10empty_typeEbEEZZNS1_14partition_implILS5_5ELb0ES3_mN6thrust23THRUST_200600_302600_NS17counting_iteratorIiNSA_11use_defaultESC_SC_EEPS6_NSA_18transform_iteratorINSA_8identityIiEENSA_6detail15normal_iteratorINSA_10device_ptrIiEEEESC_SC_EENS0_5tupleIJSM_S6_EEENSO_IJSE_SE_EEES6_PlJS6_EEE10hipError_tPvRmT3_T4_T5_T6_T7_T9_mT8_P12ihipStream_tbDpT10_ENKUlT_T0_E_clISt17integral_constantIbLb0EES1B_EEDaS16_S17_EUlS16_E_NS1_11comp_targetILNS1_3genE9ELNS1_11target_archE1100ELNS1_3gpuE3ELNS1_3repE0EEENS1_30default_config_static_selectorELNS0_4arch9wavefront6targetE0EEEvT1_
    .private_segment_fixed_size: 0
    .sgpr_count:     0
    .sgpr_spill_count: 0
    .symbol:         _ZN7rocprim17ROCPRIM_400000_NS6detail17trampoline_kernelINS0_14default_configENS1_25partition_config_selectorILNS1_17partition_subalgoE5EiNS0_10empty_typeEbEEZZNS1_14partition_implILS5_5ELb0ES3_mN6thrust23THRUST_200600_302600_NS17counting_iteratorIiNSA_11use_defaultESC_SC_EEPS6_NSA_18transform_iteratorINSA_8identityIiEENSA_6detail15normal_iteratorINSA_10device_ptrIiEEEESC_SC_EENS0_5tupleIJSM_S6_EEENSO_IJSE_SE_EEES6_PlJS6_EEE10hipError_tPvRmT3_T4_T5_T6_T7_T9_mT8_P12ihipStream_tbDpT10_ENKUlT_T0_E_clISt17integral_constantIbLb0EES1B_EEDaS16_S17_EUlS16_E_NS1_11comp_targetILNS1_3genE9ELNS1_11target_archE1100ELNS1_3gpuE3ELNS1_3repE0EEENS1_30default_config_static_selectorELNS0_4arch9wavefront6targetE0EEEvT1_.kd
    .uniform_work_group_size: 1
    .uses_dynamic_stack: false
    .vgpr_count:     0
    .vgpr_spill_count: 0
    .wavefront_size: 32
    .workgroup_processor_mode: 1
  - .args:
      - .offset:         0
        .size:           120
        .value_kind:     by_value
    .group_segment_fixed_size: 0
    .kernarg_segment_align: 8
    .kernarg_segment_size: 120
    .language:       OpenCL C
    .language_version:
      - 2
      - 0
    .max_flat_workgroup_size: 512
    .name:           _ZN7rocprim17ROCPRIM_400000_NS6detail17trampoline_kernelINS0_14default_configENS1_25partition_config_selectorILNS1_17partition_subalgoE5EiNS0_10empty_typeEbEEZZNS1_14partition_implILS5_5ELb0ES3_mN6thrust23THRUST_200600_302600_NS17counting_iteratorIiNSA_11use_defaultESC_SC_EEPS6_NSA_18transform_iteratorINSA_8identityIiEENSA_6detail15normal_iteratorINSA_10device_ptrIiEEEESC_SC_EENS0_5tupleIJSM_S6_EEENSO_IJSE_SE_EEES6_PlJS6_EEE10hipError_tPvRmT3_T4_T5_T6_T7_T9_mT8_P12ihipStream_tbDpT10_ENKUlT_T0_E_clISt17integral_constantIbLb0EES1B_EEDaS16_S17_EUlS16_E_NS1_11comp_targetILNS1_3genE8ELNS1_11target_archE1030ELNS1_3gpuE2ELNS1_3repE0EEENS1_30default_config_static_selectorELNS0_4arch9wavefront6targetE0EEEvT1_
    .private_segment_fixed_size: 0
    .sgpr_count:     0
    .sgpr_spill_count: 0
    .symbol:         _ZN7rocprim17ROCPRIM_400000_NS6detail17trampoline_kernelINS0_14default_configENS1_25partition_config_selectorILNS1_17partition_subalgoE5EiNS0_10empty_typeEbEEZZNS1_14partition_implILS5_5ELb0ES3_mN6thrust23THRUST_200600_302600_NS17counting_iteratorIiNSA_11use_defaultESC_SC_EEPS6_NSA_18transform_iteratorINSA_8identityIiEENSA_6detail15normal_iteratorINSA_10device_ptrIiEEEESC_SC_EENS0_5tupleIJSM_S6_EEENSO_IJSE_SE_EEES6_PlJS6_EEE10hipError_tPvRmT3_T4_T5_T6_T7_T9_mT8_P12ihipStream_tbDpT10_ENKUlT_T0_E_clISt17integral_constantIbLb0EES1B_EEDaS16_S17_EUlS16_E_NS1_11comp_targetILNS1_3genE8ELNS1_11target_archE1030ELNS1_3gpuE2ELNS1_3repE0EEENS1_30default_config_static_selectorELNS0_4arch9wavefront6targetE0EEEvT1_.kd
    .uniform_work_group_size: 1
    .uses_dynamic_stack: false
    .vgpr_count:     0
    .vgpr_spill_count: 0
    .wavefront_size: 32
    .workgroup_processor_mode: 1
  - .args:
      - .offset:         0
        .size:           40
        .value_kind:     by_value
    .group_segment_fixed_size: 0
    .kernarg_segment_align: 8
    .kernarg_segment_size: 40
    .language:       OpenCL C
    .language_version:
      - 2
      - 0
    .max_flat_workgroup_size: 128
    .name:           _ZN7rocprim17ROCPRIM_400000_NS6detail17trampoline_kernelINS0_14default_configENS1_25transform_config_selectorImLb1EEEZNS1_14transform_implILb1ES3_S5_PmPlNS0_8identityIvEEEE10hipError_tT2_T3_mT4_P12ihipStream_tbEUlT_E_NS1_11comp_targetILNS1_3genE0ELNS1_11target_archE4294967295ELNS1_3gpuE0ELNS1_3repE0EEENS1_30default_config_static_selectorELNS0_4arch9wavefront6targetE0EEEvT1_
    .private_segment_fixed_size: 0
    .sgpr_count:     0
    .sgpr_spill_count: 0
    .symbol:         _ZN7rocprim17ROCPRIM_400000_NS6detail17trampoline_kernelINS0_14default_configENS1_25transform_config_selectorImLb1EEEZNS1_14transform_implILb1ES3_S5_PmPlNS0_8identityIvEEEE10hipError_tT2_T3_mT4_P12ihipStream_tbEUlT_E_NS1_11comp_targetILNS1_3genE0ELNS1_11target_archE4294967295ELNS1_3gpuE0ELNS1_3repE0EEENS1_30default_config_static_selectorELNS0_4arch9wavefront6targetE0EEEvT1_.kd
    .uniform_work_group_size: 1
    .uses_dynamic_stack: false
    .vgpr_count:     0
    .vgpr_spill_count: 0
    .wavefront_size: 32
    .workgroup_processor_mode: 1
  - .args:
      - .offset:         0
        .size:           40
        .value_kind:     by_value
      - .offset:         40
        .size:           4
        .value_kind:     hidden_block_count_x
      - .offset:         44
        .size:           4
        .value_kind:     hidden_block_count_y
      - .offset:         48
        .size:           4
        .value_kind:     hidden_block_count_z
      - .offset:         52
        .size:           2
        .value_kind:     hidden_group_size_x
      - .offset:         54
        .size:           2
        .value_kind:     hidden_group_size_y
      - .offset:         56
        .size:           2
        .value_kind:     hidden_group_size_z
      - .offset:         58
        .size:           2
        .value_kind:     hidden_remainder_x
      - .offset:         60
        .size:           2
        .value_kind:     hidden_remainder_y
      - .offset:         62
        .size:           2
        .value_kind:     hidden_remainder_z
      - .offset:         80
        .size:           8
        .value_kind:     hidden_global_offset_x
      - .offset:         88
        .size:           8
        .value_kind:     hidden_global_offset_y
      - .offset:         96
        .size:           8
        .value_kind:     hidden_global_offset_z
      - .offset:         104
        .size:           2
        .value_kind:     hidden_grid_dims
    .group_segment_fixed_size: 0
    .kernarg_segment_align: 8
    .kernarg_segment_size: 296
    .language:       OpenCL C
    .language_version:
      - 2
      - 0
    .max_flat_workgroup_size: 1024
    .name:           _ZN7rocprim17ROCPRIM_400000_NS6detail17trampoline_kernelINS0_14default_configENS1_25transform_config_selectorImLb1EEEZNS1_14transform_implILb1ES3_S5_PmPlNS0_8identityIvEEEE10hipError_tT2_T3_mT4_P12ihipStream_tbEUlT_E_NS1_11comp_targetILNS1_3genE10ELNS1_11target_archE1201ELNS1_3gpuE5ELNS1_3repE0EEENS1_30default_config_static_selectorELNS0_4arch9wavefront6targetE0EEEvT1_
    .private_segment_fixed_size: 0
    .sgpr_count:     15
    .sgpr_spill_count: 0
    .symbol:         _ZN7rocprim17ROCPRIM_400000_NS6detail17trampoline_kernelINS0_14default_configENS1_25transform_config_selectorImLb1EEEZNS1_14transform_implILb1ES3_S5_PmPlNS0_8identityIvEEEE10hipError_tT2_T3_mT4_P12ihipStream_tbEUlT_E_NS1_11comp_targetILNS1_3genE10ELNS1_11target_archE1201ELNS1_3gpuE5ELNS1_3repE0EEENS1_30default_config_static_selectorELNS0_4arch9wavefront6targetE0EEEvT1_.kd
    .uniform_work_group_size: 1
    .uses_dynamic_stack: false
    .vgpr_count:     7
    .vgpr_spill_count: 0
    .wavefront_size: 32
    .workgroup_processor_mode: 1
  - .args:
      - .offset:         0
        .size:           40
        .value_kind:     by_value
    .group_segment_fixed_size: 0
    .kernarg_segment_align: 8
    .kernarg_segment_size: 40
    .language:       OpenCL C
    .language_version:
      - 2
      - 0
    .max_flat_workgroup_size: 512
    .name:           _ZN7rocprim17ROCPRIM_400000_NS6detail17trampoline_kernelINS0_14default_configENS1_25transform_config_selectorImLb1EEEZNS1_14transform_implILb1ES3_S5_PmPlNS0_8identityIvEEEE10hipError_tT2_T3_mT4_P12ihipStream_tbEUlT_E_NS1_11comp_targetILNS1_3genE5ELNS1_11target_archE942ELNS1_3gpuE9ELNS1_3repE0EEENS1_30default_config_static_selectorELNS0_4arch9wavefront6targetE0EEEvT1_
    .private_segment_fixed_size: 0
    .sgpr_count:     0
    .sgpr_spill_count: 0
    .symbol:         _ZN7rocprim17ROCPRIM_400000_NS6detail17trampoline_kernelINS0_14default_configENS1_25transform_config_selectorImLb1EEEZNS1_14transform_implILb1ES3_S5_PmPlNS0_8identityIvEEEE10hipError_tT2_T3_mT4_P12ihipStream_tbEUlT_E_NS1_11comp_targetILNS1_3genE5ELNS1_11target_archE942ELNS1_3gpuE9ELNS1_3repE0EEENS1_30default_config_static_selectorELNS0_4arch9wavefront6targetE0EEEvT1_.kd
    .uniform_work_group_size: 1
    .uses_dynamic_stack: false
    .vgpr_count:     0
    .vgpr_spill_count: 0
    .wavefront_size: 32
    .workgroup_processor_mode: 1
  - .args:
      - .offset:         0
        .size:           40
        .value_kind:     by_value
    .group_segment_fixed_size: 0
    .kernarg_segment_align: 8
    .kernarg_segment_size: 40
    .language:       OpenCL C
    .language_version:
      - 2
      - 0
    .max_flat_workgroup_size: 1024
    .name:           _ZN7rocprim17ROCPRIM_400000_NS6detail17trampoline_kernelINS0_14default_configENS1_25transform_config_selectorImLb1EEEZNS1_14transform_implILb1ES3_S5_PmPlNS0_8identityIvEEEE10hipError_tT2_T3_mT4_P12ihipStream_tbEUlT_E_NS1_11comp_targetILNS1_3genE4ELNS1_11target_archE910ELNS1_3gpuE8ELNS1_3repE0EEENS1_30default_config_static_selectorELNS0_4arch9wavefront6targetE0EEEvT1_
    .private_segment_fixed_size: 0
    .sgpr_count:     0
    .sgpr_spill_count: 0
    .symbol:         _ZN7rocprim17ROCPRIM_400000_NS6detail17trampoline_kernelINS0_14default_configENS1_25transform_config_selectorImLb1EEEZNS1_14transform_implILb1ES3_S5_PmPlNS0_8identityIvEEEE10hipError_tT2_T3_mT4_P12ihipStream_tbEUlT_E_NS1_11comp_targetILNS1_3genE4ELNS1_11target_archE910ELNS1_3gpuE8ELNS1_3repE0EEENS1_30default_config_static_selectorELNS0_4arch9wavefront6targetE0EEEvT1_.kd
    .uniform_work_group_size: 1
    .uses_dynamic_stack: false
    .vgpr_count:     0
    .vgpr_spill_count: 0
    .wavefront_size: 32
    .workgroup_processor_mode: 1
  - .args:
      - .offset:         0
        .size:           40
        .value_kind:     by_value
    .group_segment_fixed_size: 0
    .kernarg_segment_align: 8
    .kernarg_segment_size: 40
    .language:       OpenCL C
    .language_version:
      - 2
      - 0
    .max_flat_workgroup_size: 128
    .name:           _ZN7rocprim17ROCPRIM_400000_NS6detail17trampoline_kernelINS0_14default_configENS1_25transform_config_selectorImLb1EEEZNS1_14transform_implILb1ES3_S5_PmPlNS0_8identityIvEEEE10hipError_tT2_T3_mT4_P12ihipStream_tbEUlT_E_NS1_11comp_targetILNS1_3genE3ELNS1_11target_archE908ELNS1_3gpuE7ELNS1_3repE0EEENS1_30default_config_static_selectorELNS0_4arch9wavefront6targetE0EEEvT1_
    .private_segment_fixed_size: 0
    .sgpr_count:     0
    .sgpr_spill_count: 0
    .symbol:         _ZN7rocprim17ROCPRIM_400000_NS6detail17trampoline_kernelINS0_14default_configENS1_25transform_config_selectorImLb1EEEZNS1_14transform_implILb1ES3_S5_PmPlNS0_8identityIvEEEE10hipError_tT2_T3_mT4_P12ihipStream_tbEUlT_E_NS1_11comp_targetILNS1_3genE3ELNS1_11target_archE908ELNS1_3gpuE7ELNS1_3repE0EEENS1_30default_config_static_selectorELNS0_4arch9wavefront6targetE0EEEvT1_.kd
    .uniform_work_group_size: 1
    .uses_dynamic_stack: false
    .vgpr_count:     0
    .vgpr_spill_count: 0
    .wavefront_size: 32
    .workgroup_processor_mode: 1
  - .args:
      - .offset:         0
        .size:           40
        .value_kind:     by_value
    .group_segment_fixed_size: 0
    .kernarg_segment_align: 8
    .kernarg_segment_size: 40
    .language:       OpenCL C
    .language_version:
      - 2
      - 0
    .max_flat_workgroup_size: 512
    .name:           _ZN7rocprim17ROCPRIM_400000_NS6detail17trampoline_kernelINS0_14default_configENS1_25transform_config_selectorImLb1EEEZNS1_14transform_implILb1ES3_S5_PmPlNS0_8identityIvEEEE10hipError_tT2_T3_mT4_P12ihipStream_tbEUlT_E_NS1_11comp_targetILNS1_3genE2ELNS1_11target_archE906ELNS1_3gpuE6ELNS1_3repE0EEENS1_30default_config_static_selectorELNS0_4arch9wavefront6targetE0EEEvT1_
    .private_segment_fixed_size: 0
    .sgpr_count:     0
    .sgpr_spill_count: 0
    .symbol:         _ZN7rocprim17ROCPRIM_400000_NS6detail17trampoline_kernelINS0_14default_configENS1_25transform_config_selectorImLb1EEEZNS1_14transform_implILb1ES3_S5_PmPlNS0_8identityIvEEEE10hipError_tT2_T3_mT4_P12ihipStream_tbEUlT_E_NS1_11comp_targetILNS1_3genE2ELNS1_11target_archE906ELNS1_3gpuE6ELNS1_3repE0EEENS1_30default_config_static_selectorELNS0_4arch9wavefront6targetE0EEEvT1_.kd
    .uniform_work_group_size: 1
    .uses_dynamic_stack: false
    .vgpr_count:     0
    .vgpr_spill_count: 0
    .wavefront_size: 32
    .workgroup_processor_mode: 1
  - .args:
      - .offset:         0
        .size:           40
        .value_kind:     by_value
    .group_segment_fixed_size: 0
    .kernarg_segment_align: 8
    .kernarg_segment_size: 40
    .language:       OpenCL C
    .language_version:
      - 2
      - 0
    .max_flat_workgroup_size: 1024
    .name:           _ZN7rocprim17ROCPRIM_400000_NS6detail17trampoline_kernelINS0_14default_configENS1_25transform_config_selectorImLb1EEEZNS1_14transform_implILb1ES3_S5_PmPlNS0_8identityIvEEEE10hipError_tT2_T3_mT4_P12ihipStream_tbEUlT_E_NS1_11comp_targetILNS1_3genE9ELNS1_11target_archE1100ELNS1_3gpuE3ELNS1_3repE0EEENS1_30default_config_static_selectorELNS0_4arch9wavefront6targetE0EEEvT1_
    .private_segment_fixed_size: 0
    .sgpr_count:     0
    .sgpr_spill_count: 0
    .symbol:         _ZN7rocprim17ROCPRIM_400000_NS6detail17trampoline_kernelINS0_14default_configENS1_25transform_config_selectorImLb1EEEZNS1_14transform_implILb1ES3_S5_PmPlNS0_8identityIvEEEE10hipError_tT2_T3_mT4_P12ihipStream_tbEUlT_E_NS1_11comp_targetILNS1_3genE9ELNS1_11target_archE1100ELNS1_3gpuE3ELNS1_3repE0EEENS1_30default_config_static_selectorELNS0_4arch9wavefront6targetE0EEEvT1_.kd
    .uniform_work_group_size: 1
    .uses_dynamic_stack: false
    .vgpr_count:     0
    .vgpr_spill_count: 0
    .wavefront_size: 32
    .workgroup_processor_mode: 1
  - .args:
      - .offset:         0
        .size:           40
        .value_kind:     by_value
    .group_segment_fixed_size: 0
    .kernarg_segment_align: 8
    .kernarg_segment_size: 40
    .language:       OpenCL C
    .language_version:
      - 2
      - 0
    .max_flat_workgroup_size: 1024
    .name:           _ZN7rocprim17ROCPRIM_400000_NS6detail17trampoline_kernelINS0_14default_configENS1_25transform_config_selectorImLb1EEEZNS1_14transform_implILb1ES3_S5_PmPlNS0_8identityIvEEEE10hipError_tT2_T3_mT4_P12ihipStream_tbEUlT_E_NS1_11comp_targetILNS1_3genE8ELNS1_11target_archE1030ELNS1_3gpuE2ELNS1_3repE0EEENS1_30default_config_static_selectorELNS0_4arch9wavefront6targetE0EEEvT1_
    .private_segment_fixed_size: 0
    .sgpr_count:     0
    .sgpr_spill_count: 0
    .symbol:         _ZN7rocprim17ROCPRIM_400000_NS6detail17trampoline_kernelINS0_14default_configENS1_25transform_config_selectorImLb1EEEZNS1_14transform_implILb1ES3_S5_PmPlNS0_8identityIvEEEE10hipError_tT2_T3_mT4_P12ihipStream_tbEUlT_E_NS1_11comp_targetILNS1_3genE8ELNS1_11target_archE1030ELNS1_3gpuE2ELNS1_3repE0EEENS1_30default_config_static_selectorELNS0_4arch9wavefront6targetE0EEEvT1_.kd
    .uniform_work_group_size: 1
    .uses_dynamic_stack: false
    .vgpr_count:     0
    .vgpr_spill_count: 0
    .wavefront_size: 32
    .workgroup_processor_mode: 1
  - .args:
      - .address_space:  global
        .offset:         0
        .size:           8
        .value_kind:     global_buffer
      - .offset:         8
        .size:           4
        .value_kind:     by_value
      - .address_space:  global
        .offset:         16
        .size:           8
        .value_kind:     global_buffer
      - .offset:         24
        .size:           4
        .value_kind:     by_value
      - .address_space:  global
        .offset:         32
        .size:           8
        .value_kind:     global_buffer
      - .offset:         40
        .size:           4
        .value_kind:     hidden_block_count_x
      - .offset:         44
        .size:           4
        .value_kind:     hidden_block_count_y
      - .offset:         48
        .size:           4
        .value_kind:     hidden_block_count_z
      - .offset:         52
        .size:           2
        .value_kind:     hidden_group_size_x
      - .offset:         54
        .size:           2
        .value_kind:     hidden_group_size_y
      - .offset:         56
        .size:           2
        .value_kind:     hidden_group_size_z
      - .offset:         58
        .size:           2
        .value_kind:     hidden_remainder_x
      - .offset:         60
        .size:           2
        .value_kind:     hidden_remainder_y
      - .offset:         62
        .size:           2
        .value_kind:     hidden_remainder_z
      - .offset:         80
        .size:           8
        .value_kind:     hidden_global_offset_x
      - .offset:         88
        .size:           8
        .value_kind:     hidden_global_offset_y
      - .offset:         96
        .size:           8
        .value_kind:     hidden_global_offset_z
      - .offset:         104
        .size:           2
        .value_kind:     hidden_grid_dims
    .group_segment_fixed_size: 0
    .kernarg_segment_align: 8
    .kernarg_segment_size: 296
    .language:       OpenCL C
    .language_version:
      - 2
      - 0
    .max_flat_workgroup_size: 256
    .name:           _ZN7rocprim17ROCPRIM_400000_NS6detail31init_lookback_scan_state_kernelINS1_19lookback_scan_stateImLb1ELb1EEENS1_16block_id_wrapperIjLb1EEEEEvT_jT0_jPNS7_10value_typeE
    .private_segment_fixed_size: 0
    .sgpr_count:     14
    .sgpr_spill_count: 0
    .symbol:         _ZN7rocprim17ROCPRIM_400000_NS6detail31init_lookback_scan_state_kernelINS1_19lookback_scan_stateImLb1ELb1EEENS1_16block_id_wrapperIjLb1EEEEEvT_jT0_jPNS7_10value_typeE.kd
    .uniform_work_group_size: 1
    .uses_dynamic_stack: false
    .vgpr_count:     8
    .vgpr_spill_count: 0
    .wavefront_size: 32
    .workgroup_processor_mode: 1
  - .args:
      - .offset:         0
        .size:           136
        .value_kind:     by_value
    .group_segment_fixed_size: 0
    .kernarg_segment_align: 8
    .kernarg_segment_size: 136
    .language:       OpenCL C
    .language_version:
      - 2
      - 0
    .max_flat_workgroup_size: 512
    .name:           _ZN7rocprim17ROCPRIM_400000_NS6detail17trampoline_kernelINS0_14default_configENS1_25partition_config_selectorILNS1_17partition_subalgoE5EiNS0_10empty_typeEbEEZZNS1_14partition_implILS5_5ELb0ES3_mN6thrust23THRUST_200600_302600_NS17counting_iteratorIiNSA_11use_defaultESC_SC_EEPS6_NSA_18transform_iteratorINSA_8identityIiEENSA_6detail15normal_iteratorINSA_10device_ptrIiEEEESC_SC_EENS0_5tupleIJSM_S6_EEENSO_IJSE_SE_EEES6_PlJS6_EEE10hipError_tPvRmT3_T4_T5_T6_T7_T9_mT8_P12ihipStream_tbDpT10_ENKUlT_T0_E_clISt17integral_constantIbLb1EES1B_EEDaS16_S17_EUlS16_E_NS1_11comp_targetILNS1_3genE0ELNS1_11target_archE4294967295ELNS1_3gpuE0ELNS1_3repE0EEENS1_30default_config_static_selectorELNS0_4arch9wavefront6targetE0EEEvT1_
    .private_segment_fixed_size: 0
    .sgpr_count:     0
    .sgpr_spill_count: 0
    .symbol:         _ZN7rocprim17ROCPRIM_400000_NS6detail17trampoline_kernelINS0_14default_configENS1_25partition_config_selectorILNS1_17partition_subalgoE5EiNS0_10empty_typeEbEEZZNS1_14partition_implILS5_5ELb0ES3_mN6thrust23THRUST_200600_302600_NS17counting_iteratorIiNSA_11use_defaultESC_SC_EEPS6_NSA_18transform_iteratorINSA_8identityIiEENSA_6detail15normal_iteratorINSA_10device_ptrIiEEEESC_SC_EENS0_5tupleIJSM_S6_EEENSO_IJSE_SE_EEES6_PlJS6_EEE10hipError_tPvRmT3_T4_T5_T6_T7_T9_mT8_P12ihipStream_tbDpT10_ENKUlT_T0_E_clISt17integral_constantIbLb1EES1B_EEDaS16_S17_EUlS16_E_NS1_11comp_targetILNS1_3genE0ELNS1_11target_archE4294967295ELNS1_3gpuE0ELNS1_3repE0EEENS1_30default_config_static_selectorELNS0_4arch9wavefront6targetE0EEEvT1_.kd
    .uniform_work_group_size: 1
    .uses_dynamic_stack: false
    .vgpr_count:     0
    .vgpr_spill_count: 0
    .wavefront_size: 32
    .workgroup_processor_mode: 1
  - .args:
      - .offset:         0
        .size:           136
        .value_kind:     by_value
    .group_segment_fixed_size: 0
    .kernarg_segment_align: 8
    .kernarg_segment_size: 136
    .language:       OpenCL C
    .language_version:
      - 2
      - 0
    .max_flat_workgroup_size: 512
    .name:           _ZN7rocprim17ROCPRIM_400000_NS6detail17trampoline_kernelINS0_14default_configENS1_25partition_config_selectorILNS1_17partition_subalgoE5EiNS0_10empty_typeEbEEZZNS1_14partition_implILS5_5ELb0ES3_mN6thrust23THRUST_200600_302600_NS17counting_iteratorIiNSA_11use_defaultESC_SC_EEPS6_NSA_18transform_iteratorINSA_8identityIiEENSA_6detail15normal_iteratorINSA_10device_ptrIiEEEESC_SC_EENS0_5tupleIJSM_S6_EEENSO_IJSE_SE_EEES6_PlJS6_EEE10hipError_tPvRmT3_T4_T5_T6_T7_T9_mT8_P12ihipStream_tbDpT10_ENKUlT_T0_E_clISt17integral_constantIbLb1EES1B_EEDaS16_S17_EUlS16_E_NS1_11comp_targetILNS1_3genE5ELNS1_11target_archE942ELNS1_3gpuE9ELNS1_3repE0EEENS1_30default_config_static_selectorELNS0_4arch9wavefront6targetE0EEEvT1_
    .private_segment_fixed_size: 0
    .sgpr_count:     0
    .sgpr_spill_count: 0
    .symbol:         _ZN7rocprim17ROCPRIM_400000_NS6detail17trampoline_kernelINS0_14default_configENS1_25partition_config_selectorILNS1_17partition_subalgoE5EiNS0_10empty_typeEbEEZZNS1_14partition_implILS5_5ELb0ES3_mN6thrust23THRUST_200600_302600_NS17counting_iteratorIiNSA_11use_defaultESC_SC_EEPS6_NSA_18transform_iteratorINSA_8identityIiEENSA_6detail15normal_iteratorINSA_10device_ptrIiEEEESC_SC_EENS0_5tupleIJSM_S6_EEENSO_IJSE_SE_EEES6_PlJS6_EEE10hipError_tPvRmT3_T4_T5_T6_T7_T9_mT8_P12ihipStream_tbDpT10_ENKUlT_T0_E_clISt17integral_constantIbLb1EES1B_EEDaS16_S17_EUlS16_E_NS1_11comp_targetILNS1_3genE5ELNS1_11target_archE942ELNS1_3gpuE9ELNS1_3repE0EEENS1_30default_config_static_selectorELNS0_4arch9wavefront6targetE0EEEvT1_.kd
    .uniform_work_group_size: 1
    .uses_dynamic_stack: false
    .vgpr_count:     0
    .vgpr_spill_count: 0
    .wavefront_size: 32
    .workgroup_processor_mode: 1
  - .args:
      - .offset:         0
        .size:           136
        .value_kind:     by_value
    .group_segment_fixed_size: 0
    .kernarg_segment_align: 8
    .kernarg_segment_size: 136
    .language:       OpenCL C
    .language_version:
      - 2
      - 0
    .max_flat_workgroup_size: 256
    .name:           _ZN7rocprim17ROCPRIM_400000_NS6detail17trampoline_kernelINS0_14default_configENS1_25partition_config_selectorILNS1_17partition_subalgoE5EiNS0_10empty_typeEbEEZZNS1_14partition_implILS5_5ELb0ES3_mN6thrust23THRUST_200600_302600_NS17counting_iteratorIiNSA_11use_defaultESC_SC_EEPS6_NSA_18transform_iteratorINSA_8identityIiEENSA_6detail15normal_iteratorINSA_10device_ptrIiEEEESC_SC_EENS0_5tupleIJSM_S6_EEENSO_IJSE_SE_EEES6_PlJS6_EEE10hipError_tPvRmT3_T4_T5_T6_T7_T9_mT8_P12ihipStream_tbDpT10_ENKUlT_T0_E_clISt17integral_constantIbLb1EES1B_EEDaS16_S17_EUlS16_E_NS1_11comp_targetILNS1_3genE4ELNS1_11target_archE910ELNS1_3gpuE8ELNS1_3repE0EEENS1_30default_config_static_selectorELNS0_4arch9wavefront6targetE0EEEvT1_
    .private_segment_fixed_size: 0
    .sgpr_count:     0
    .sgpr_spill_count: 0
    .symbol:         _ZN7rocprim17ROCPRIM_400000_NS6detail17trampoline_kernelINS0_14default_configENS1_25partition_config_selectorILNS1_17partition_subalgoE5EiNS0_10empty_typeEbEEZZNS1_14partition_implILS5_5ELb0ES3_mN6thrust23THRUST_200600_302600_NS17counting_iteratorIiNSA_11use_defaultESC_SC_EEPS6_NSA_18transform_iteratorINSA_8identityIiEENSA_6detail15normal_iteratorINSA_10device_ptrIiEEEESC_SC_EENS0_5tupleIJSM_S6_EEENSO_IJSE_SE_EEES6_PlJS6_EEE10hipError_tPvRmT3_T4_T5_T6_T7_T9_mT8_P12ihipStream_tbDpT10_ENKUlT_T0_E_clISt17integral_constantIbLb1EES1B_EEDaS16_S17_EUlS16_E_NS1_11comp_targetILNS1_3genE4ELNS1_11target_archE910ELNS1_3gpuE8ELNS1_3repE0EEENS1_30default_config_static_selectorELNS0_4arch9wavefront6targetE0EEEvT1_.kd
    .uniform_work_group_size: 1
    .uses_dynamic_stack: false
    .vgpr_count:     0
    .vgpr_spill_count: 0
    .wavefront_size: 32
    .workgroup_processor_mode: 1
  - .args:
      - .offset:         0
        .size:           136
        .value_kind:     by_value
    .group_segment_fixed_size: 0
    .kernarg_segment_align: 8
    .kernarg_segment_size: 136
    .language:       OpenCL C
    .language_version:
      - 2
      - 0
    .max_flat_workgroup_size: 512
    .name:           _ZN7rocprim17ROCPRIM_400000_NS6detail17trampoline_kernelINS0_14default_configENS1_25partition_config_selectorILNS1_17partition_subalgoE5EiNS0_10empty_typeEbEEZZNS1_14partition_implILS5_5ELb0ES3_mN6thrust23THRUST_200600_302600_NS17counting_iteratorIiNSA_11use_defaultESC_SC_EEPS6_NSA_18transform_iteratorINSA_8identityIiEENSA_6detail15normal_iteratorINSA_10device_ptrIiEEEESC_SC_EENS0_5tupleIJSM_S6_EEENSO_IJSE_SE_EEES6_PlJS6_EEE10hipError_tPvRmT3_T4_T5_T6_T7_T9_mT8_P12ihipStream_tbDpT10_ENKUlT_T0_E_clISt17integral_constantIbLb1EES1B_EEDaS16_S17_EUlS16_E_NS1_11comp_targetILNS1_3genE3ELNS1_11target_archE908ELNS1_3gpuE7ELNS1_3repE0EEENS1_30default_config_static_selectorELNS0_4arch9wavefront6targetE0EEEvT1_
    .private_segment_fixed_size: 0
    .sgpr_count:     0
    .sgpr_spill_count: 0
    .symbol:         _ZN7rocprim17ROCPRIM_400000_NS6detail17trampoline_kernelINS0_14default_configENS1_25partition_config_selectorILNS1_17partition_subalgoE5EiNS0_10empty_typeEbEEZZNS1_14partition_implILS5_5ELb0ES3_mN6thrust23THRUST_200600_302600_NS17counting_iteratorIiNSA_11use_defaultESC_SC_EEPS6_NSA_18transform_iteratorINSA_8identityIiEENSA_6detail15normal_iteratorINSA_10device_ptrIiEEEESC_SC_EENS0_5tupleIJSM_S6_EEENSO_IJSE_SE_EEES6_PlJS6_EEE10hipError_tPvRmT3_T4_T5_T6_T7_T9_mT8_P12ihipStream_tbDpT10_ENKUlT_T0_E_clISt17integral_constantIbLb1EES1B_EEDaS16_S17_EUlS16_E_NS1_11comp_targetILNS1_3genE3ELNS1_11target_archE908ELNS1_3gpuE7ELNS1_3repE0EEENS1_30default_config_static_selectorELNS0_4arch9wavefront6targetE0EEEvT1_.kd
    .uniform_work_group_size: 1
    .uses_dynamic_stack: false
    .vgpr_count:     0
    .vgpr_spill_count: 0
    .wavefront_size: 32
    .workgroup_processor_mode: 1
  - .args:
      - .offset:         0
        .size:           136
        .value_kind:     by_value
    .group_segment_fixed_size: 0
    .kernarg_segment_align: 8
    .kernarg_segment_size: 136
    .language:       OpenCL C
    .language_version:
      - 2
      - 0
    .max_flat_workgroup_size: 256
    .name:           _ZN7rocprim17ROCPRIM_400000_NS6detail17trampoline_kernelINS0_14default_configENS1_25partition_config_selectorILNS1_17partition_subalgoE5EiNS0_10empty_typeEbEEZZNS1_14partition_implILS5_5ELb0ES3_mN6thrust23THRUST_200600_302600_NS17counting_iteratorIiNSA_11use_defaultESC_SC_EEPS6_NSA_18transform_iteratorINSA_8identityIiEENSA_6detail15normal_iteratorINSA_10device_ptrIiEEEESC_SC_EENS0_5tupleIJSM_S6_EEENSO_IJSE_SE_EEES6_PlJS6_EEE10hipError_tPvRmT3_T4_T5_T6_T7_T9_mT8_P12ihipStream_tbDpT10_ENKUlT_T0_E_clISt17integral_constantIbLb1EES1B_EEDaS16_S17_EUlS16_E_NS1_11comp_targetILNS1_3genE2ELNS1_11target_archE906ELNS1_3gpuE6ELNS1_3repE0EEENS1_30default_config_static_selectorELNS0_4arch9wavefront6targetE0EEEvT1_
    .private_segment_fixed_size: 0
    .sgpr_count:     0
    .sgpr_spill_count: 0
    .symbol:         _ZN7rocprim17ROCPRIM_400000_NS6detail17trampoline_kernelINS0_14default_configENS1_25partition_config_selectorILNS1_17partition_subalgoE5EiNS0_10empty_typeEbEEZZNS1_14partition_implILS5_5ELb0ES3_mN6thrust23THRUST_200600_302600_NS17counting_iteratorIiNSA_11use_defaultESC_SC_EEPS6_NSA_18transform_iteratorINSA_8identityIiEENSA_6detail15normal_iteratorINSA_10device_ptrIiEEEESC_SC_EENS0_5tupleIJSM_S6_EEENSO_IJSE_SE_EEES6_PlJS6_EEE10hipError_tPvRmT3_T4_T5_T6_T7_T9_mT8_P12ihipStream_tbDpT10_ENKUlT_T0_E_clISt17integral_constantIbLb1EES1B_EEDaS16_S17_EUlS16_E_NS1_11comp_targetILNS1_3genE2ELNS1_11target_archE906ELNS1_3gpuE6ELNS1_3repE0EEENS1_30default_config_static_selectorELNS0_4arch9wavefront6targetE0EEEvT1_.kd
    .uniform_work_group_size: 1
    .uses_dynamic_stack: false
    .vgpr_count:     0
    .vgpr_spill_count: 0
    .wavefront_size: 32
    .workgroup_processor_mode: 1
  - .args:
      - .offset:         0
        .size:           136
        .value_kind:     by_value
    .group_segment_fixed_size: 0
    .kernarg_segment_align: 8
    .kernarg_segment_size: 136
    .language:       OpenCL C
    .language_version:
      - 2
      - 0
    .max_flat_workgroup_size: 192
    .name:           _ZN7rocprim17ROCPRIM_400000_NS6detail17trampoline_kernelINS0_14default_configENS1_25partition_config_selectorILNS1_17partition_subalgoE5EiNS0_10empty_typeEbEEZZNS1_14partition_implILS5_5ELb0ES3_mN6thrust23THRUST_200600_302600_NS17counting_iteratorIiNSA_11use_defaultESC_SC_EEPS6_NSA_18transform_iteratorINSA_8identityIiEENSA_6detail15normal_iteratorINSA_10device_ptrIiEEEESC_SC_EENS0_5tupleIJSM_S6_EEENSO_IJSE_SE_EEES6_PlJS6_EEE10hipError_tPvRmT3_T4_T5_T6_T7_T9_mT8_P12ihipStream_tbDpT10_ENKUlT_T0_E_clISt17integral_constantIbLb1EES1B_EEDaS16_S17_EUlS16_E_NS1_11comp_targetILNS1_3genE10ELNS1_11target_archE1200ELNS1_3gpuE4ELNS1_3repE0EEENS1_30default_config_static_selectorELNS0_4arch9wavefront6targetE0EEEvT1_
    .private_segment_fixed_size: 0
    .sgpr_count:     0
    .sgpr_spill_count: 0
    .symbol:         _ZN7rocprim17ROCPRIM_400000_NS6detail17trampoline_kernelINS0_14default_configENS1_25partition_config_selectorILNS1_17partition_subalgoE5EiNS0_10empty_typeEbEEZZNS1_14partition_implILS5_5ELb0ES3_mN6thrust23THRUST_200600_302600_NS17counting_iteratorIiNSA_11use_defaultESC_SC_EEPS6_NSA_18transform_iteratorINSA_8identityIiEENSA_6detail15normal_iteratorINSA_10device_ptrIiEEEESC_SC_EENS0_5tupleIJSM_S6_EEENSO_IJSE_SE_EEES6_PlJS6_EEE10hipError_tPvRmT3_T4_T5_T6_T7_T9_mT8_P12ihipStream_tbDpT10_ENKUlT_T0_E_clISt17integral_constantIbLb1EES1B_EEDaS16_S17_EUlS16_E_NS1_11comp_targetILNS1_3genE10ELNS1_11target_archE1200ELNS1_3gpuE4ELNS1_3repE0EEENS1_30default_config_static_selectorELNS0_4arch9wavefront6targetE0EEEvT1_.kd
    .uniform_work_group_size: 1
    .uses_dynamic_stack: false
    .vgpr_count:     0
    .vgpr_spill_count: 0
    .wavefront_size: 32
    .workgroup_processor_mode: 1
  - .args:
      - .offset:         0
        .size:           136
        .value_kind:     by_value
    .group_segment_fixed_size: 0
    .kernarg_segment_align: 8
    .kernarg_segment_size: 136
    .language:       OpenCL C
    .language_version:
      - 2
      - 0
    .max_flat_workgroup_size: 128
    .name:           _ZN7rocprim17ROCPRIM_400000_NS6detail17trampoline_kernelINS0_14default_configENS1_25partition_config_selectorILNS1_17partition_subalgoE5EiNS0_10empty_typeEbEEZZNS1_14partition_implILS5_5ELb0ES3_mN6thrust23THRUST_200600_302600_NS17counting_iteratorIiNSA_11use_defaultESC_SC_EEPS6_NSA_18transform_iteratorINSA_8identityIiEENSA_6detail15normal_iteratorINSA_10device_ptrIiEEEESC_SC_EENS0_5tupleIJSM_S6_EEENSO_IJSE_SE_EEES6_PlJS6_EEE10hipError_tPvRmT3_T4_T5_T6_T7_T9_mT8_P12ihipStream_tbDpT10_ENKUlT_T0_E_clISt17integral_constantIbLb1EES1B_EEDaS16_S17_EUlS16_E_NS1_11comp_targetILNS1_3genE9ELNS1_11target_archE1100ELNS1_3gpuE3ELNS1_3repE0EEENS1_30default_config_static_selectorELNS0_4arch9wavefront6targetE0EEEvT1_
    .private_segment_fixed_size: 0
    .sgpr_count:     0
    .sgpr_spill_count: 0
    .symbol:         _ZN7rocprim17ROCPRIM_400000_NS6detail17trampoline_kernelINS0_14default_configENS1_25partition_config_selectorILNS1_17partition_subalgoE5EiNS0_10empty_typeEbEEZZNS1_14partition_implILS5_5ELb0ES3_mN6thrust23THRUST_200600_302600_NS17counting_iteratorIiNSA_11use_defaultESC_SC_EEPS6_NSA_18transform_iteratorINSA_8identityIiEENSA_6detail15normal_iteratorINSA_10device_ptrIiEEEESC_SC_EENS0_5tupleIJSM_S6_EEENSO_IJSE_SE_EEES6_PlJS6_EEE10hipError_tPvRmT3_T4_T5_T6_T7_T9_mT8_P12ihipStream_tbDpT10_ENKUlT_T0_E_clISt17integral_constantIbLb1EES1B_EEDaS16_S17_EUlS16_E_NS1_11comp_targetILNS1_3genE9ELNS1_11target_archE1100ELNS1_3gpuE3ELNS1_3repE0EEENS1_30default_config_static_selectorELNS0_4arch9wavefront6targetE0EEEvT1_.kd
    .uniform_work_group_size: 1
    .uses_dynamic_stack: false
    .vgpr_count:     0
    .vgpr_spill_count: 0
    .wavefront_size: 32
    .workgroup_processor_mode: 1
  - .args:
      - .offset:         0
        .size:           136
        .value_kind:     by_value
    .group_segment_fixed_size: 0
    .kernarg_segment_align: 8
    .kernarg_segment_size: 136
    .language:       OpenCL C
    .language_version:
      - 2
      - 0
    .max_flat_workgroup_size: 512
    .name:           _ZN7rocprim17ROCPRIM_400000_NS6detail17trampoline_kernelINS0_14default_configENS1_25partition_config_selectorILNS1_17partition_subalgoE5EiNS0_10empty_typeEbEEZZNS1_14partition_implILS5_5ELb0ES3_mN6thrust23THRUST_200600_302600_NS17counting_iteratorIiNSA_11use_defaultESC_SC_EEPS6_NSA_18transform_iteratorINSA_8identityIiEENSA_6detail15normal_iteratorINSA_10device_ptrIiEEEESC_SC_EENS0_5tupleIJSM_S6_EEENSO_IJSE_SE_EEES6_PlJS6_EEE10hipError_tPvRmT3_T4_T5_T6_T7_T9_mT8_P12ihipStream_tbDpT10_ENKUlT_T0_E_clISt17integral_constantIbLb1EES1B_EEDaS16_S17_EUlS16_E_NS1_11comp_targetILNS1_3genE8ELNS1_11target_archE1030ELNS1_3gpuE2ELNS1_3repE0EEENS1_30default_config_static_selectorELNS0_4arch9wavefront6targetE0EEEvT1_
    .private_segment_fixed_size: 0
    .sgpr_count:     0
    .sgpr_spill_count: 0
    .symbol:         _ZN7rocprim17ROCPRIM_400000_NS6detail17trampoline_kernelINS0_14default_configENS1_25partition_config_selectorILNS1_17partition_subalgoE5EiNS0_10empty_typeEbEEZZNS1_14partition_implILS5_5ELb0ES3_mN6thrust23THRUST_200600_302600_NS17counting_iteratorIiNSA_11use_defaultESC_SC_EEPS6_NSA_18transform_iteratorINSA_8identityIiEENSA_6detail15normal_iteratorINSA_10device_ptrIiEEEESC_SC_EENS0_5tupleIJSM_S6_EEENSO_IJSE_SE_EEES6_PlJS6_EEE10hipError_tPvRmT3_T4_T5_T6_T7_T9_mT8_P12ihipStream_tbDpT10_ENKUlT_T0_E_clISt17integral_constantIbLb1EES1B_EEDaS16_S17_EUlS16_E_NS1_11comp_targetILNS1_3genE8ELNS1_11target_archE1030ELNS1_3gpuE2ELNS1_3repE0EEENS1_30default_config_static_selectorELNS0_4arch9wavefront6targetE0EEEvT1_.kd
    .uniform_work_group_size: 1
    .uses_dynamic_stack: false
    .vgpr_count:     0
    .vgpr_spill_count: 0
    .wavefront_size: 32
    .workgroup_processor_mode: 1
  - .args:
      - .address_space:  global
        .offset:         0
        .size:           8
        .value_kind:     global_buffer
      - .offset:         8
        .size:           4
        .value_kind:     by_value
      - .offset:         12
        .size:           1
        .value_kind:     by_value
      - .offset:         16
        .size:           4
        .value_kind:     by_value
      - .address_space:  global
        .offset:         24
        .size:           8
        .value_kind:     global_buffer
      - .offset:         32
        .size:           4
        .value_kind:     hidden_block_count_x
      - .offset:         36
        .size:           4
        .value_kind:     hidden_block_count_y
      - .offset:         40
        .size:           4
        .value_kind:     hidden_block_count_z
      - .offset:         44
        .size:           2
        .value_kind:     hidden_group_size_x
      - .offset:         46
        .size:           2
        .value_kind:     hidden_group_size_y
      - .offset:         48
        .size:           2
        .value_kind:     hidden_group_size_z
      - .offset:         50
        .size:           2
        .value_kind:     hidden_remainder_x
      - .offset:         52
        .size:           2
        .value_kind:     hidden_remainder_y
      - .offset:         54
        .size:           2
        .value_kind:     hidden_remainder_z
      - .offset:         72
        .size:           8
        .value_kind:     hidden_global_offset_x
      - .offset:         80
        .size:           8
        .value_kind:     hidden_global_offset_y
      - .offset:         88
        .size:           8
        .value_kind:     hidden_global_offset_z
      - .offset:         96
        .size:           2
        .value_kind:     hidden_grid_dims
    .group_segment_fixed_size: 0
    .kernarg_segment_align: 8
    .kernarg_segment_size: 288
    .language:       OpenCL C
    .language_version:
      - 2
      - 0
    .max_flat_workgroup_size: 256
    .name:           _ZN7rocprim17ROCPRIM_400000_NS6detail31init_lookback_scan_state_kernelINS1_19lookback_scan_stateImLb1ELb1EEENS1_16block_id_wrapperIjLb0EEEEEvT_jT0_jPNS7_10value_typeE
    .private_segment_fixed_size: 0
    .sgpr_count:     12
    .sgpr_spill_count: 0
    .symbol:         _ZN7rocprim17ROCPRIM_400000_NS6detail31init_lookback_scan_state_kernelINS1_19lookback_scan_stateImLb1ELb1EEENS1_16block_id_wrapperIjLb0EEEEEvT_jT0_jPNS7_10value_typeE.kd
    .uniform_work_group_size: 1
    .uses_dynamic_stack: false
    .vgpr_count:     8
    .vgpr_spill_count: 0
    .wavefront_size: 32
    .workgroup_processor_mode: 1
  - .args:
      - .offset:         0
        .size:           120
        .value_kind:     by_value
    .group_segment_fixed_size: 0
    .kernarg_segment_align: 8
    .kernarg_segment_size: 120
    .language:       OpenCL C
    .language_version:
      - 2
      - 0
    .max_flat_workgroup_size: 512
    .name:           _ZN7rocprim17ROCPRIM_400000_NS6detail17trampoline_kernelINS0_14default_configENS1_25partition_config_selectorILNS1_17partition_subalgoE5EiNS0_10empty_typeEbEEZZNS1_14partition_implILS5_5ELb0ES3_mN6thrust23THRUST_200600_302600_NS17counting_iteratorIiNSA_11use_defaultESC_SC_EEPS6_NSA_18transform_iteratorINSA_8identityIiEENSA_6detail15normal_iteratorINSA_10device_ptrIiEEEESC_SC_EENS0_5tupleIJSM_S6_EEENSO_IJSE_SE_EEES6_PlJS6_EEE10hipError_tPvRmT3_T4_T5_T6_T7_T9_mT8_P12ihipStream_tbDpT10_ENKUlT_T0_E_clISt17integral_constantIbLb1EES1A_IbLb0EEEEDaS16_S17_EUlS16_E_NS1_11comp_targetILNS1_3genE0ELNS1_11target_archE4294967295ELNS1_3gpuE0ELNS1_3repE0EEENS1_30default_config_static_selectorELNS0_4arch9wavefront6targetE0EEEvT1_
    .private_segment_fixed_size: 0
    .sgpr_count:     0
    .sgpr_spill_count: 0
    .symbol:         _ZN7rocprim17ROCPRIM_400000_NS6detail17trampoline_kernelINS0_14default_configENS1_25partition_config_selectorILNS1_17partition_subalgoE5EiNS0_10empty_typeEbEEZZNS1_14partition_implILS5_5ELb0ES3_mN6thrust23THRUST_200600_302600_NS17counting_iteratorIiNSA_11use_defaultESC_SC_EEPS6_NSA_18transform_iteratorINSA_8identityIiEENSA_6detail15normal_iteratorINSA_10device_ptrIiEEEESC_SC_EENS0_5tupleIJSM_S6_EEENSO_IJSE_SE_EEES6_PlJS6_EEE10hipError_tPvRmT3_T4_T5_T6_T7_T9_mT8_P12ihipStream_tbDpT10_ENKUlT_T0_E_clISt17integral_constantIbLb1EES1A_IbLb0EEEEDaS16_S17_EUlS16_E_NS1_11comp_targetILNS1_3genE0ELNS1_11target_archE4294967295ELNS1_3gpuE0ELNS1_3repE0EEENS1_30default_config_static_selectorELNS0_4arch9wavefront6targetE0EEEvT1_.kd
    .uniform_work_group_size: 1
    .uses_dynamic_stack: false
    .vgpr_count:     0
    .vgpr_spill_count: 0
    .wavefront_size: 32
    .workgroup_processor_mode: 1
  - .args:
      - .offset:         0
        .size:           120
        .value_kind:     by_value
    .group_segment_fixed_size: 0
    .kernarg_segment_align: 8
    .kernarg_segment_size: 120
    .language:       OpenCL C
    .language_version:
      - 2
      - 0
    .max_flat_workgroup_size: 512
    .name:           _ZN7rocprim17ROCPRIM_400000_NS6detail17trampoline_kernelINS0_14default_configENS1_25partition_config_selectorILNS1_17partition_subalgoE5EiNS0_10empty_typeEbEEZZNS1_14partition_implILS5_5ELb0ES3_mN6thrust23THRUST_200600_302600_NS17counting_iteratorIiNSA_11use_defaultESC_SC_EEPS6_NSA_18transform_iteratorINSA_8identityIiEENSA_6detail15normal_iteratorINSA_10device_ptrIiEEEESC_SC_EENS0_5tupleIJSM_S6_EEENSO_IJSE_SE_EEES6_PlJS6_EEE10hipError_tPvRmT3_T4_T5_T6_T7_T9_mT8_P12ihipStream_tbDpT10_ENKUlT_T0_E_clISt17integral_constantIbLb1EES1A_IbLb0EEEEDaS16_S17_EUlS16_E_NS1_11comp_targetILNS1_3genE5ELNS1_11target_archE942ELNS1_3gpuE9ELNS1_3repE0EEENS1_30default_config_static_selectorELNS0_4arch9wavefront6targetE0EEEvT1_
    .private_segment_fixed_size: 0
    .sgpr_count:     0
    .sgpr_spill_count: 0
    .symbol:         _ZN7rocprim17ROCPRIM_400000_NS6detail17trampoline_kernelINS0_14default_configENS1_25partition_config_selectorILNS1_17partition_subalgoE5EiNS0_10empty_typeEbEEZZNS1_14partition_implILS5_5ELb0ES3_mN6thrust23THRUST_200600_302600_NS17counting_iteratorIiNSA_11use_defaultESC_SC_EEPS6_NSA_18transform_iteratorINSA_8identityIiEENSA_6detail15normal_iteratorINSA_10device_ptrIiEEEESC_SC_EENS0_5tupleIJSM_S6_EEENSO_IJSE_SE_EEES6_PlJS6_EEE10hipError_tPvRmT3_T4_T5_T6_T7_T9_mT8_P12ihipStream_tbDpT10_ENKUlT_T0_E_clISt17integral_constantIbLb1EES1A_IbLb0EEEEDaS16_S17_EUlS16_E_NS1_11comp_targetILNS1_3genE5ELNS1_11target_archE942ELNS1_3gpuE9ELNS1_3repE0EEENS1_30default_config_static_selectorELNS0_4arch9wavefront6targetE0EEEvT1_.kd
    .uniform_work_group_size: 1
    .uses_dynamic_stack: false
    .vgpr_count:     0
    .vgpr_spill_count: 0
    .wavefront_size: 32
    .workgroup_processor_mode: 1
  - .args:
      - .offset:         0
        .size:           120
        .value_kind:     by_value
    .group_segment_fixed_size: 0
    .kernarg_segment_align: 8
    .kernarg_segment_size: 120
    .language:       OpenCL C
    .language_version:
      - 2
      - 0
    .max_flat_workgroup_size: 256
    .name:           _ZN7rocprim17ROCPRIM_400000_NS6detail17trampoline_kernelINS0_14default_configENS1_25partition_config_selectorILNS1_17partition_subalgoE5EiNS0_10empty_typeEbEEZZNS1_14partition_implILS5_5ELb0ES3_mN6thrust23THRUST_200600_302600_NS17counting_iteratorIiNSA_11use_defaultESC_SC_EEPS6_NSA_18transform_iteratorINSA_8identityIiEENSA_6detail15normal_iteratorINSA_10device_ptrIiEEEESC_SC_EENS0_5tupleIJSM_S6_EEENSO_IJSE_SE_EEES6_PlJS6_EEE10hipError_tPvRmT3_T4_T5_T6_T7_T9_mT8_P12ihipStream_tbDpT10_ENKUlT_T0_E_clISt17integral_constantIbLb1EES1A_IbLb0EEEEDaS16_S17_EUlS16_E_NS1_11comp_targetILNS1_3genE4ELNS1_11target_archE910ELNS1_3gpuE8ELNS1_3repE0EEENS1_30default_config_static_selectorELNS0_4arch9wavefront6targetE0EEEvT1_
    .private_segment_fixed_size: 0
    .sgpr_count:     0
    .sgpr_spill_count: 0
    .symbol:         _ZN7rocprim17ROCPRIM_400000_NS6detail17trampoline_kernelINS0_14default_configENS1_25partition_config_selectorILNS1_17partition_subalgoE5EiNS0_10empty_typeEbEEZZNS1_14partition_implILS5_5ELb0ES3_mN6thrust23THRUST_200600_302600_NS17counting_iteratorIiNSA_11use_defaultESC_SC_EEPS6_NSA_18transform_iteratorINSA_8identityIiEENSA_6detail15normal_iteratorINSA_10device_ptrIiEEEESC_SC_EENS0_5tupleIJSM_S6_EEENSO_IJSE_SE_EEES6_PlJS6_EEE10hipError_tPvRmT3_T4_T5_T6_T7_T9_mT8_P12ihipStream_tbDpT10_ENKUlT_T0_E_clISt17integral_constantIbLb1EES1A_IbLb0EEEEDaS16_S17_EUlS16_E_NS1_11comp_targetILNS1_3genE4ELNS1_11target_archE910ELNS1_3gpuE8ELNS1_3repE0EEENS1_30default_config_static_selectorELNS0_4arch9wavefront6targetE0EEEvT1_.kd
    .uniform_work_group_size: 1
    .uses_dynamic_stack: false
    .vgpr_count:     0
    .vgpr_spill_count: 0
    .wavefront_size: 32
    .workgroup_processor_mode: 1
  - .args:
      - .offset:         0
        .size:           120
        .value_kind:     by_value
    .group_segment_fixed_size: 0
    .kernarg_segment_align: 8
    .kernarg_segment_size: 120
    .language:       OpenCL C
    .language_version:
      - 2
      - 0
    .max_flat_workgroup_size: 512
    .name:           _ZN7rocprim17ROCPRIM_400000_NS6detail17trampoline_kernelINS0_14default_configENS1_25partition_config_selectorILNS1_17partition_subalgoE5EiNS0_10empty_typeEbEEZZNS1_14partition_implILS5_5ELb0ES3_mN6thrust23THRUST_200600_302600_NS17counting_iteratorIiNSA_11use_defaultESC_SC_EEPS6_NSA_18transform_iteratorINSA_8identityIiEENSA_6detail15normal_iteratorINSA_10device_ptrIiEEEESC_SC_EENS0_5tupleIJSM_S6_EEENSO_IJSE_SE_EEES6_PlJS6_EEE10hipError_tPvRmT3_T4_T5_T6_T7_T9_mT8_P12ihipStream_tbDpT10_ENKUlT_T0_E_clISt17integral_constantIbLb1EES1A_IbLb0EEEEDaS16_S17_EUlS16_E_NS1_11comp_targetILNS1_3genE3ELNS1_11target_archE908ELNS1_3gpuE7ELNS1_3repE0EEENS1_30default_config_static_selectorELNS0_4arch9wavefront6targetE0EEEvT1_
    .private_segment_fixed_size: 0
    .sgpr_count:     0
    .sgpr_spill_count: 0
    .symbol:         _ZN7rocprim17ROCPRIM_400000_NS6detail17trampoline_kernelINS0_14default_configENS1_25partition_config_selectorILNS1_17partition_subalgoE5EiNS0_10empty_typeEbEEZZNS1_14partition_implILS5_5ELb0ES3_mN6thrust23THRUST_200600_302600_NS17counting_iteratorIiNSA_11use_defaultESC_SC_EEPS6_NSA_18transform_iteratorINSA_8identityIiEENSA_6detail15normal_iteratorINSA_10device_ptrIiEEEESC_SC_EENS0_5tupleIJSM_S6_EEENSO_IJSE_SE_EEES6_PlJS6_EEE10hipError_tPvRmT3_T4_T5_T6_T7_T9_mT8_P12ihipStream_tbDpT10_ENKUlT_T0_E_clISt17integral_constantIbLb1EES1A_IbLb0EEEEDaS16_S17_EUlS16_E_NS1_11comp_targetILNS1_3genE3ELNS1_11target_archE908ELNS1_3gpuE7ELNS1_3repE0EEENS1_30default_config_static_selectorELNS0_4arch9wavefront6targetE0EEEvT1_.kd
    .uniform_work_group_size: 1
    .uses_dynamic_stack: false
    .vgpr_count:     0
    .vgpr_spill_count: 0
    .wavefront_size: 32
    .workgroup_processor_mode: 1
  - .args:
      - .offset:         0
        .size:           120
        .value_kind:     by_value
    .group_segment_fixed_size: 0
    .kernarg_segment_align: 8
    .kernarg_segment_size: 120
    .language:       OpenCL C
    .language_version:
      - 2
      - 0
    .max_flat_workgroup_size: 256
    .name:           _ZN7rocprim17ROCPRIM_400000_NS6detail17trampoline_kernelINS0_14default_configENS1_25partition_config_selectorILNS1_17partition_subalgoE5EiNS0_10empty_typeEbEEZZNS1_14partition_implILS5_5ELb0ES3_mN6thrust23THRUST_200600_302600_NS17counting_iteratorIiNSA_11use_defaultESC_SC_EEPS6_NSA_18transform_iteratorINSA_8identityIiEENSA_6detail15normal_iteratorINSA_10device_ptrIiEEEESC_SC_EENS0_5tupleIJSM_S6_EEENSO_IJSE_SE_EEES6_PlJS6_EEE10hipError_tPvRmT3_T4_T5_T6_T7_T9_mT8_P12ihipStream_tbDpT10_ENKUlT_T0_E_clISt17integral_constantIbLb1EES1A_IbLb0EEEEDaS16_S17_EUlS16_E_NS1_11comp_targetILNS1_3genE2ELNS1_11target_archE906ELNS1_3gpuE6ELNS1_3repE0EEENS1_30default_config_static_selectorELNS0_4arch9wavefront6targetE0EEEvT1_
    .private_segment_fixed_size: 0
    .sgpr_count:     0
    .sgpr_spill_count: 0
    .symbol:         _ZN7rocprim17ROCPRIM_400000_NS6detail17trampoline_kernelINS0_14default_configENS1_25partition_config_selectorILNS1_17partition_subalgoE5EiNS0_10empty_typeEbEEZZNS1_14partition_implILS5_5ELb0ES3_mN6thrust23THRUST_200600_302600_NS17counting_iteratorIiNSA_11use_defaultESC_SC_EEPS6_NSA_18transform_iteratorINSA_8identityIiEENSA_6detail15normal_iteratorINSA_10device_ptrIiEEEESC_SC_EENS0_5tupleIJSM_S6_EEENSO_IJSE_SE_EEES6_PlJS6_EEE10hipError_tPvRmT3_T4_T5_T6_T7_T9_mT8_P12ihipStream_tbDpT10_ENKUlT_T0_E_clISt17integral_constantIbLb1EES1A_IbLb0EEEEDaS16_S17_EUlS16_E_NS1_11comp_targetILNS1_3genE2ELNS1_11target_archE906ELNS1_3gpuE6ELNS1_3repE0EEENS1_30default_config_static_selectorELNS0_4arch9wavefront6targetE0EEEvT1_.kd
    .uniform_work_group_size: 1
    .uses_dynamic_stack: false
    .vgpr_count:     0
    .vgpr_spill_count: 0
    .wavefront_size: 32
    .workgroup_processor_mode: 1
  - .args:
      - .offset:         0
        .size:           120
        .value_kind:     by_value
    .group_segment_fixed_size: 0
    .kernarg_segment_align: 8
    .kernarg_segment_size: 120
    .language:       OpenCL C
    .language_version:
      - 2
      - 0
    .max_flat_workgroup_size: 192
    .name:           _ZN7rocprim17ROCPRIM_400000_NS6detail17trampoline_kernelINS0_14default_configENS1_25partition_config_selectorILNS1_17partition_subalgoE5EiNS0_10empty_typeEbEEZZNS1_14partition_implILS5_5ELb0ES3_mN6thrust23THRUST_200600_302600_NS17counting_iteratorIiNSA_11use_defaultESC_SC_EEPS6_NSA_18transform_iteratorINSA_8identityIiEENSA_6detail15normal_iteratorINSA_10device_ptrIiEEEESC_SC_EENS0_5tupleIJSM_S6_EEENSO_IJSE_SE_EEES6_PlJS6_EEE10hipError_tPvRmT3_T4_T5_T6_T7_T9_mT8_P12ihipStream_tbDpT10_ENKUlT_T0_E_clISt17integral_constantIbLb1EES1A_IbLb0EEEEDaS16_S17_EUlS16_E_NS1_11comp_targetILNS1_3genE10ELNS1_11target_archE1200ELNS1_3gpuE4ELNS1_3repE0EEENS1_30default_config_static_selectorELNS0_4arch9wavefront6targetE0EEEvT1_
    .private_segment_fixed_size: 0
    .sgpr_count:     0
    .sgpr_spill_count: 0
    .symbol:         _ZN7rocprim17ROCPRIM_400000_NS6detail17trampoline_kernelINS0_14default_configENS1_25partition_config_selectorILNS1_17partition_subalgoE5EiNS0_10empty_typeEbEEZZNS1_14partition_implILS5_5ELb0ES3_mN6thrust23THRUST_200600_302600_NS17counting_iteratorIiNSA_11use_defaultESC_SC_EEPS6_NSA_18transform_iteratorINSA_8identityIiEENSA_6detail15normal_iteratorINSA_10device_ptrIiEEEESC_SC_EENS0_5tupleIJSM_S6_EEENSO_IJSE_SE_EEES6_PlJS6_EEE10hipError_tPvRmT3_T4_T5_T6_T7_T9_mT8_P12ihipStream_tbDpT10_ENKUlT_T0_E_clISt17integral_constantIbLb1EES1A_IbLb0EEEEDaS16_S17_EUlS16_E_NS1_11comp_targetILNS1_3genE10ELNS1_11target_archE1200ELNS1_3gpuE4ELNS1_3repE0EEENS1_30default_config_static_selectorELNS0_4arch9wavefront6targetE0EEEvT1_.kd
    .uniform_work_group_size: 1
    .uses_dynamic_stack: false
    .vgpr_count:     0
    .vgpr_spill_count: 0
    .wavefront_size: 32
    .workgroup_processor_mode: 1
  - .args:
      - .offset:         0
        .size:           120
        .value_kind:     by_value
    .group_segment_fixed_size: 0
    .kernarg_segment_align: 8
    .kernarg_segment_size: 120
    .language:       OpenCL C
    .language_version:
      - 2
      - 0
    .max_flat_workgroup_size: 128
    .name:           _ZN7rocprim17ROCPRIM_400000_NS6detail17trampoline_kernelINS0_14default_configENS1_25partition_config_selectorILNS1_17partition_subalgoE5EiNS0_10empty_typeEbEEZZNS1_14partition_implILS5_5ELb0ES3_mN6thrust23THRUST_200600_302600_NS17counting_iteratorIiNSA_11use_defaultESC_SC_EEPS6_NSA_18transform_iteratorINSA_8identityIiEENSA_6detail15normal_iteratorINSA_10device_ptrIiEEEESC_SC_EENS0_5tupleIJSM_S6_EEENSO_IJSE_SE_EEES6_PlJS6_EEE10hipError_tPvRmT3_T4_T5_T6_T7_T9_mT8_P12ihipStream_tbDpT10_ENKUlT_T0_E_clISt17integral_constantIbLb1EES1A_IbLb0EEEEDaS16_S17_EUlS16_E_NS1_11comp_targetILNS1_3genE9ELNS1_11target_archE1100ELNS1_3gpuE3ELNS1_3repE0EEENS1_30default_config_static_selectorELNS0_4arch9wavefront6targetE0EEEvT1_
    .private_segment_fixed_size: 0
    .sgpr_count:     0
    .sgpr_spill_count: 0
    .symbol:         _ZN7rocprim17ROCPRIM_400000_NS6detail17trampoline_kernelINS0_14default_configENS1_25partition_config_selectorILNS1_17partition_subalgoE5EiNS0_10empty_typeEbEEZZNS1_14partition_implILS5_5ELb0ES3_mN6thrust23THRUST_200600_302600_NS17counting_iteratorIiNSA_11use_defaultESC_SC_EEPS6_NSA_18transform_iteratorINSA_8identityIiEENSA_6detail15normal_iteratorINSA_10device_ptrIiEEEESC_SC_EENS0_5tupleIJSM_S6_EEENSO_IJSE_SE_EEES6_PlJS6_EEE10hipError_tPvRmT3_T4_T5_T6_T7_T9_mT8_P12ihipStream_tbDpT10_ENKUlT_T0_E_clISt17integral_constantIbLb1EES1A_IbLb0EEEEDaS16_S17_EUlS16_E_NS1_11comp_targetILNS1_3genE9ELNS1_11target_archE1100ELNS1_3gpuE3ELNS1_3repE0EEENS1_30default_config_static_selectorELNS0_4arch9wavefront6targetE0EEEvT1_.kd
    .uniform_work_group_size: 1
    .uses_dynamic_stack: false
    .vgpr_count:     0
    .vgpr_spill_count: 0
    .wavefront_size: 32
    .workgroup_processor_mode: 1
  - .args:
      - .offset:         0
        .size:           120
        .value_kind:     by_value
    .group_segment_fixed_size: 0
    .kernarg_segment_align: 8
    .kernarg_segment_size: 120
    .language:       OpenCL C
    .language_version:
      - 2
      - 0
    .max_flat_workgroup_size: 512
    .name:           _ZN7rocprim17ROCPRIM_400000_NS6detail17trampoline_kernelINS0_14default_configENS1_25partition_config_selectorILNS1_17partition_subalgoE5EiNS0_10empty_typeEbEEZZNS1_14partition_implILS5_5ELb0ES3_mN6thrust23THRUST_200600_302600_NS17counting_iteratorIiNSA_11use_defaultESC_SC_EEPS6_NSA_18transform_iteratorINSA_8identityIiEENSA_6detail15normal_iteratorINSA_10device_ptrIiEEEESC_SC_EENS0_5tupleIJSM_S6_EEENSO_IJSE_SE_EEES6_PlJS6_EEE10hipError_tPvRmT3_T4_T5_T6_T7_T9_mT8_P12ihipStream_tbDpT10_ENKUlT_T0_E_clISt17integral_constantIbLb1EES1A_IbLb0EEEEDaS16_S17_EUlS16_E_NS1_11comp_targetILNS1_3genE8ELNS1_11target_archE1030ELNS1_3gpuE2ELNS1_3repE0EEENS1_30default_config_static_selectorELNS0_4arch9wavefront6targetE0EEEvT1_
    .private_segment_fixed_size: 0
    .sgpr_count:     0
    .sgpr_spill_count: 0
    .symbol:         _ZN7rocprim17ROCPRIM_400000_NS6detail17trampoline_kernelINS0_14default_configENS1_25partition_config_selectorILNS1_17partition_subalgoE5EiNS0_10empty_typeEbEEZZNS1_14partition_implILS5_5ELb0ES3_mN6thrust23THRUST_200600_302600_NS17counting_iteratorIiNSA_11use_defaultESC_SC_EEPS6_NSA_18transform_iteratorINSA_8identityIiEENSA_6detail15normal_iteratorINSA_10device_ptrIiEEEESC_SC_EENS0_5tupleIJSM_S6_EEENSO_IJSE_SE_EEES6_PlJS6_EEE10hipError_tPvRmT3_T4_T5_T6_T7_T9_mT8_P12ihipStream_tbDpT10_ENKUlT_T0_E_clISt17integral_constantIbLb1EES1A_IbLb0EEEEDaS16_S17_EUlS16_E_NS1_11comp_targetILNS1_3genE8ELNS1_11target_archE1030ELNS1_3gpuE2ELNS1_3repE0EEENS1_30default_config_static_selectorELNS0_4arch9wavefront6targetE0EEEvT1_.kd
    .uniform_work_group_size: 1
    .uses_dynamic_stack: false
    .vgpr_count:     0
    .vgpr_spill_count: 0
    .wavefront_size: 32
    .workgroup_processor_mode: 1
  - .args:
      - .address_space:  global
        .offset:         0
        .size:           8
        .value_kind:     global_buffer
      - .offset:         8
        .size:           4
        .value_kind:     by_value
      - .address_space:  global
        .offset:         16
        .size:           8
        .value_kind:     global_buffer
      - .offset:         24
        .size:           4
        .value_kind:     by_value
      - .address_space:  global
        .offset:         32
        .size:           8
        .value_kind:     global_buffer
      - .offset:         40
        .size:           4
        .value_kind:     hidden_block_count_x
      - .offset:         44
        .size:           4
        .value_kind:     hidden_block_count_y
      - .offset:         48
        .size:           4
        .value_kind:     hidden_block_count_z
      - .offset:         52
        .size:           2
        .value_kind:     hidden_group_size_x
      - .offset:         54
        .size:           2
        .value_kind:     hidden_group_size_y
      - .offset:         56
        .size:           2
        .value_kind:     hidden_group_size_z
      - .offset:         58
        .size:           2
        .value_kind:     hidden_remainder_x
      - .offset:         60
        .size:           2
        .value_kind:     hidden_remainder_y
      - .offset:         62
        .size:           2
        .value_kind:     hidden_remainder_z
      - .offset:         80
        .size:           8
        .value_kind:     hidden_global_offset_x
      - .offset:         88
        .size:           8
        .value_kind:     hidden_global_offset_y
      - .offset:         96
        .size:           8
        .value_kind:     hidden_global_offset_z
      - .offset:         104
        .size:           2
        .value_kind:     hidden_grid_dims
    .group_segment_fixed_size: 0
    .kernarg_segment_align: 8
    .kernarg_segment_size: 296
    .language:       OpenCL C
    .language_version:
      - 2
      - 0
    .max_flat_workgroup_size: 256
    .name:           _ZN7rocprim17ROCPRIM_400000_NS6detail31init_lookback_scan_state_kernelINS1_19lookback_scan_stateImLb0ELb1EEENS1_16block_id_wrapperIjLb1EEEEEvT_jT0_jPNS7_10value_typeE
    .private_segment_fixed_size: 0
    .sgpr_count:     13
    .sgpr_spill_count: 0
    .symbol:         _ZN7rocprim17ROCPRIM_400000_NS6detail31init_lookback_scan_state_kernelINS1_19lookback_scan_stateImLb0ELb1EEENS1_16block_id_wrapperIjLb1EEEEEvT_jT0_jPNS7_10value_typeE.kd
    .uniform_work_group_size: 1
    .uses_dynamic_stack: false
    .vgpr_count:     8
    .vgpr_spill_count: 0
    .wavefront_size: 32
    .workgroup_processor_mode: 1
  - .args:
      - .offset:         0
        .size:           136
        .value_kind:     by_value
    .group_segment_fixed_size: 0
    .kernarg_segment_align: 8
    .kernarg_segment_size: 136
    .language:       OpenCL C
    .language_version:
      - 2
      - 0
    .max_flat_workgroup_size: 512
    .name:           _ZN7rocprim17ROCPRIM_400000_NS6detail17trampoline_kernelINS0_14default_configENS1_25partition_config_selectorILNS1_17partition_subalgoE5EiNS0_10empty_typeEbEEZZNS1_14partition_implILS5_5ELb0ES3_mN6thrust23THRUST_200600_302600_NS17counting_iteratorIiNSA_11use_defaultESC_SC_EEPS6_NSA_18transform_iteratorINSA_8identityIiEENSA_6detail15normal_iteratorINSA_10device_ptrIiEEEESC_SC_EENS0_5tupleIJSM_S6_EEENSO_IJSE_SE_EEES6_PlJS6_EEE10hipError_tPvRmT3_T4_T5_T6_T7_T9_mT8_P12ihipStream_tbDpT10_ENKUlT_T0_E_clISt17integral_constantIbLb0EES1A_IbLb1EEEEDaS16_S17_EUlS16_E_NS1_11comp_targetILNS1_3genE0ELNS1_11target_archE4294967295ELNS1_3gpuE0ELNS1_3repE0EEENS1_30default_config_static_selectorELNS0_4arch9wavefront6targetE0EEEvT1_
    .private_segment_fixed_size: 0
    .sgpr_count:     0
    .sgpr_spill_count: 0
    .symbol:         _ZN7rocprim17ROCPRIM_400000_NS6detail17trampoline_kernelINS0_14default_configENS1_25partition_config_selectorILNS1_17partition_subalgoE5EiNS0_10empty_typeEbEEZZNS1_14partition_implILS5_5ELb0ES3_mN6thrust23THRUST_200600_302600_NS17counting_iteratorIiNSA_11use_defaultESC_SC_EEPS6_NSA_18transform_iteratorINSA_8identityIiEENSA_6detail15normal_iteratorINSA_10device_ptrIiEEEESC_SC_EENS0_5tupleIJSM_S6_EEENSO_IJSE_SE_EEES6_PlJS6_EEE10hipError_tPvRmT3_T4_T5_T6_T7_T9_mT8_P12ihipStream_tbDpT10_ENKUlT_T0_E_clISt17integral_constantIbLb0EES1A_IbLb1EEEEDaS16_S17_EUlS16_E_NS1_11comp_targetILNS1_3genE0ELNS1_11target_archE4294967295ELNS1_3gpuE0ELNS1_3repE0EEENS1_30default_config_static_selectorELNS0_4arch9wavefront6targetE0EEEvT1_.kd
    .uniform_work_group_size: 1
    .uses_dynamic_stack: false
    .vgpr_count:     0
    .vgpr_spill_count: 0
    .wavefront_size: 32
    .workgroup_processor_mode: 1
  - .args:
      - .offset:         0
        .size:           136
        .value_kind:     by_value
    .group_segment_fixed_size: 0
    .kernarg_segment_align: 8
    .kernarg_segment_size: 136
    .language:       OpenCL C
    .language_version:
      - 2
      - 0
    .max_flat_workgroup_size: 512
    .name:           _ZN7rocprim17ROCPRIM_400000_NS6detail17trampoline_kernelINS0_14default_configENS1_25partition_config_selectorILNS1_17partition_subalgoE5EiNS0_10empty_typeEbEEZZNS1_14partition_implILS5_5ELb0ES3_mN6thrust23THRUST_200600_302600_NS17counting_iteratorIiNSA_11use_defaultESC_SC_EEPS6_NSA_18transform_iteratorINSA_8identityIiEENSA_6detail15normal_iteratorINSA_10device_ptrIiEEEESC_SC_EENS0_5tupleIJSM_S6_EEENSO_IJSE_SE_EEES6_PlJS6_EEE10hipError_tPvRmT3_T4_T5_T6_T7_T9_mT8_P12ihipStream_tbDpT10_ENKUlT_T0_E_clISt17integral_constantIbLb0EES1A_IbLb1EEEEDaS16_S17_EUlS16_E_NS1_11comp_targetILNS1_3genE5ELNS1_11target_archE942ELNS1_3gpuE9ELNS1_3repE0EEENS1_30default_config_static_selectorELNS0_4arch9wavefront6targetE0EEEvT1_
    .private_segment_fixed_size: 0
    .sgpr_count:     0
    .sgpr_spill_count: 0
    .symbol:         _ZN7rocprim17ROCPRIM_400000_NS6detail17trampoline_kernelINS0_14default_configENS1_25partition_config_selectorILNS1_17partition_subalgoE5EiNS0_10empty_typeEbEEZZNS1_14partition_implILS5_5ELb0ES3_mN6thrust23THRUST_200600_302600_NS17counting_iteratorIiNSA_11use_defaultESC_SC_EEPS6_NSA_18transform_iteratorINSA_8identityIiEENSA_6detail15normal_iteratorINSA_10device_ptrIiEEEESC_SC_EENS0_5tupleIJSM_S6_EEENSO_IJSE_SE_EEES6_PlJS6_EEE10hipError_tPvRmT3_T4_T5_T6_T7_T9_mT8_P12ihipStream_tbDpT10_ENKUlT_T0_E_clISt17integral_constantIbLb0EES1A_IbLb1EEEEDaS16_S17_EUlS16_E_NS1_11comp_targetILNS1_3genE5ELNS1_11target_archE942ELNS1_3gpuE9ELNS1_3repE0EEENS1_30default_config_static_selectorELNS0_4arch9wavefront6targetE0EEEvT1_.kd
    .uniform_work_group_size: 1
    .uses_dynamic_stack: false
    .vgpr_count:     0
    .vgpr_spill_count: 0
    .wavefront_size: 32
    .workgroup_processor_mode: 1
  - .args:
      - .offset:         0
        .size:           136
        .value_kind:     by_value
    .group_segment_fixed_size: 0
    .kernarg_segment_align: 8
    .kernarg_segment_size: 136
    .language:       OpenCL C
    .language_version:
      - 2
      - 0
    .max_flat_workgroup_size: 256
    .name:           _ZN7rocprim17ROCPRIM_400000_NS6detail17trampoline_kernelINS0_14default_configENS1_25partition_config_selectorILNS1_17partition_subalgoE5EiNS0_10empty_typeEbEEZZNS1_14partition_implILS5_5ELb0ES3_mN6thrust23THRUST_200600_302600_NS17counting_iteratorIiNSA_11use_defaultESC_SC_EEPS6_NSA_18transform_iteratorINSA_8identityIiEENSA_6detail15normal_iteratorINSA_10device_ptrIiEEEESC_SC_EENS0_5tupleIJSM_S6_EEENSO_IJSE_SE_EEES6_PlJS6_EEE10hipError_tPvRmT3_T4_T5_T6_T7_T9_mT8_P12ihipStream_tbDpT10_ENKUlT_T0_E_clISt17integral_constantIbLb0EES1A_IbLb1EEEEDaS16_S17_EUlS16_E_NS1_11comp_targetILNS1_3genE4ELNS1_11target_archE910ELNS1_3gpuE8ELNS1_3repE0EEENS1_30default_config_static_selectorELNS0_4arch9wavefront6targetE0EEEvT1_
    .private_segment_fixed_size: 0
    .sgpr_count:     0
    .sgpr_spill_count: 0
    .symbol:         _ZN7rocprim17ROCPRIM_400000_NS6detail17trampoline_kernelINS0_14default_configENS1_25partition_config_selectorILNS1_17partition_subalgoE5EiNS0_10empty_typeEbEEZZNS1_14partition_implILS5_5ELb0ES3_mN6thrust23THRUST_200600_302600_NS17counting_iteratorIiNSA_11use_defaultESC_SC_EEPS6_NSA_18transform_iteratorINSA_8identityIiEENSA_6detail15normal_iteratorINSA_10device_ptrIiEEEESC_SC_EENS0_5tupleIJSM_S6_EEENSO_IJSE_SE_EEES6_PlJS6_EEE10hipError_tPvRmT3_T4_T5_T6_T7_T9_mT8_P12ihipStream_tbDpT10_ENKUlT_T0_E_clISt17integral_constantIbLb0EES1A_IbLb1EEEEDaS16_S17_EUlS16_E_NS1_11comp_targetILNS1_3genE4ELNS1_11target_archE910ELNS1_3gpuE8ELNS1_3repE0EEENS1_30default_config_static_selectorELNS0_4arch9wavefront6targetE0EEEvT1_.kd
    .uniform_work_group_size: 1
    .uses_dynamic_stack: false
    .vgpr_count:     0
    .vgpr_spill_count: 0
    .wavefront_size: 32
    .workgroup_processor_mode: 1
  - .args:
      - .offset:         0
        .size:           136
        .value_kind:     by_value
    .group_segment_fixed_size: 0
    .kernarg_segment_align: 8
    .kernarg_segment_size: 136
    .language:       OpenCL C
    .language_version:
      - 2
      - 0
    .max_flat_workgroup_size: 512
    .name:           _ZN7rocprim17ROCPRIM_400000_NS6detail17trampoline_kernelINS0_14default_configENS1_25partition_config_selectorILNS1_17partition_subalgoE5EiNS0_10empty_typeEbEEZZNS1_14partition_implILS5_5ELb0ES3_mN6thrust23THRUST_200600_302600_NS17counting_iteratorIiNSA_11use_defaultESC_SC_EEPS6_NSA_18transform_iteratorINSA_8identityIiEENSA_6detail15normal_iteratorINSA_10device_ptrIiEEEESC_SC_EENS0_5tupleIJSM_S6_EEENSO_IJSE_SE_EEES6_PlJS6_EEE10hipError_tPvRmT3_T4_T5_T6_T7_T9_mT8_P12ihipStream_tbDpT10_ENKUlT_T0_E_clISt17integral_constantIbLb0EES1A_IbLb1EEEEDaS16_S17_EUlS16_E_NS1_11comp_targetILNS1_3genE3ELNS1_11target_archE908ELNS1_3gpuE7ELNS1_3repE0EEENS1_30default_config_static_selectorELNS0_4arch9wavefront6targetE0EEEvT1_
    .private_segment_fixed_size: 0
    .sgpr_count:     0
    .sgpr_spill_count: 0
    .symbol:         _ZN7rocprim17ROCPRIM_400000_NS6detail17trampoline_kernelINS0_14default_configENS1_25partition_config_selectorILNS1_17partition_subalgoE5EiNS0_10empty_typeEbEEZZNS1_14partition_implILS5_5ELb0ES3_mN6thrust23THRUST_200600_302600_NS17counting_iteratorIiNSA_11use_defaultESC_SC_EEPS6_NSA_18transform_iteratorINSA_8identityIiEENSA_6detail15normal_iteratorINSA_10device_ptrIiEEEESC_SC_EENS0_5tupleIJSM_S6_EEENSO_IJSE_SE_EEES6_PlJS6_EEE10hipError_tPvRmT3_T4_T5_T6_T7_T9_mT8_P12ihipStream_tbDpT10_ENKUlT_T0_E_clISt17integral_constantIbLb0EES1A_IbLb1EEEEDaS16_S17_EUlS16_E_NS1_11comp_targetILNS1_3genE3ELNS1_11target_archE908ELNS1_3gpuE7ELNS1_3repE0EEENS1_30default_config_static_selectorELNS0_4arch9wavefront6targetE0EEEvT1_.kd
    .uniform_work_group_size: 1
    .uses_dynamic_stack: false
    .vgpr_count:     0
    .vgpr_spill_count: 0
    .wavefront_size: 32
    .workgroup_processor_mode: 1
  - .args:
      - .offset:         0
        .size:           136
        .value_kind:     by_value
    .group_segment_fixed_size: 0
    .kernarg_segment_align: 8
    .kernarg_segment_size: 136
    .language:       OpenCL C
    .language_version:
      - 2
      - 0
    .max_flat_workgroup_size: 256
    .name:           _ZN7rocprim17ROCPRIM_400000_NS6detail17trampoline_kernelINS0_14default_configENS1_25partition_config_selectorILNS1_17partition_subalgoE5EiNS0_10empty_typeEbEEZZNS1_14partition_implILS5_5ELb0ES3_mN6thrust23THRUST_200600_302600_NS17counting_iteratorIiNSA_11use_defaultESC_SC_EEPS6_NSA_18transform_iteratorINSA_8identityIiEENSA_6detail15normal_iteratorINSA_10device_ptrIiEEEESC_SC_EENS0_5tupleIJSM_S6_EEENSO_IJSE_SE_EEES6_PlJS6_EEE10hipError_tPvRmT3_T4_T5_T6_T7_T9_mT8_P12ihipStream_tbDpT10_ENKUlT_T0_E_clISt17integral_constantIbLb0EES1A_IbLb1EEEEDaS16_S17_EUlS16_E_NS1_11comp_targetILNS1_3genE2ELNS1_11target_archE906ELNS1_3gpuE6ELNS1_3repE0EEENS1_30default_config_static_selectorELNS0_4arch9wavefront6targetE0EEEvT1_
    .private_segment_fixed_size: 0
    .sgpr_count:     0
    .sgpr_spill_count: 0
    .symbol:         _ZN7rocprim17ROCPRIM_400000_NS6detail17trampoline_kernelINS0_14default_configENS1_25partition_config_selectorILNS1_17partition_subalgoE5EiNS0_10empty_typeEbEEZZNS1_14partition_implILS5_5ELb0ES3_mN6thrust23THRUST_200600_302600_NS17counting_iteratorIiNSA_11use_defaultESC_SC_EEPS6_NSA_18transform_iteratorINSA_8identityIiEENSA_6detail15normal_iteratorINSA_10device_ptrIiEEEESC_SC_EENS0_5tupleIJSM_S6_EEENSO_IJSE_SE_EEES6_PlJS6_EEE10hipError_tPvRmT3_T4_T5_T6_T7_T9_mT8_P12ihipStream_tbDpT10_ENKUlT_T0_E_clISt17integral_constantIbLb0EES1A_IbLb1EEEEDaS16_S17_EUlS16_E_NS1_11comp_targetILNS1_3genE2ELNS1_11target_archE906ELNS1_3gpuE6ELNS1_3repE0EEENS1_30default_config_static_selectorELNS0_4arch9wavefront6targetE0EEEvT1_.kd
    .uniform_work_group_size: 1
    .uses_dynamic_stack: false
    .vgpr_count:     0
    .vgpr_spill_count: 0
    .wavefront_size: 32
    .workgroup_processor_mode: 1
  - .args:
      - .offset:         0
        .size:           136
        .value_kind:     by_value
    .group_segment_fixed_size: 6352
    .kernarg_segment_align: 8
    .kernarg_segment_size: 136
    .language:       OpenCL C
    .language_version:
      - 2
      - 0
    .max_flat_workgroup_size: 192
    .name:           _ZN7rocprim17ROCPRIM_400000_NS6detail17trampoline_kernelINS0_14default_configENS1_25partition_config_selectorILNS1_17partition_subalgoE5EiNS0_10empty_typeEbEEZZNS1_14partition_implILS5_5ELb0ES3_mN6thrust23THRUST_200600_302600_NS17counting_iteratorIiNSA_11use_defaultESC_SC_EEPS6_NSA_18transform_iteratorINSA_8identityIiEENSA_6detail15normal_iteratorINSA_10device_ptrIiEEEESC_SC_EENS0_5tupleIJSM_S6_EEENSO_IJSE_SE_EEES6_PlJS6_EEE10hipError_tPvRmT3_T4_T5_T6_T7_T9_mT8_P12ihipStream_tbDpT10_ENKUlT_T0_E_clISt17integral_constantIbLb0EES1A_IbLb1EEEEDaS16_S17_EUlS16_E_NS1_11comp_targetILNS1_3genE10ELNS1_11target_archE1200ELNS1_3gpuE4ELNS1_3repE0EEENS1_30default_config_static_selectorELNS0_4arch9wavefront6targetE0EEEvT1_
    .private_segment_fixed_size: 0
    .sgpr_count:     22
    .sgpr_spill_count: 0
    .symbol:         _ZN7rocprim17ROCPRIM_400000_NS6detail17trampoline_kernelINS0_14default_configENS1_25partition_config_selectorILNS1_17partition_subalgoE5EiNS0_10empty_typeEbEEZZNS1_14partition_implILS5_5ELb0ES3_mN6thrust23THRUST_200600_302600_NS17counting_iteratorIiNSA_11use_defaultESC_SC_EEPS6_NSA_18transform_iteratorINSA_8identityIiEENSA_6detail15normal_iteratorINSA_10device_ptrIiEEEESC_SC_EENS0_5tupleIJSM_S6_EEENSO_IJSE_SE_EEES6_PlJS6_EEE10hipError_tPvRmT3_T4_T5_T6_T7_T9_mT8_P12ihipStream_tbDpT10_ENKUlT_T0_E_clISt17integral_constantIbLb0EES1A_IbLb1EEEEDaS16_S17_EUlS16_E_NS1_11comp_targetILNS1_3genE10ELNS1_11target_archE1200ELNS1_3gpuE4ELNS1_3repE0EEENS1_30default_config_static_selectorELNS0_4arch9wavefront6targetE0EEEvT1_.kd
    .uniform_work_group_size: 1
    .uses_dynamic_stack: false
    .vgpr_count:     54
    .vgpr_spill_count: 0
    .wavefront_size: 32
    .workgroup_processor_mode: 1
  - .args:
      - .offset:         0
        .size:           136
        .value_kind:     by_value
    .group_segment_fixed_size: 0
    .kernarg_segment_align: 8
    .kernarg_segment_size: 136
    .language:       OpenCL C
    .language_version:
      - 2
      - 0
    .max_flat_workgroup_size: 128
    .name:           _ZN7rocprim17ROCPRIM_400000_NS6detail17trampoline_kernelINS0_14default_configENS1_25partition_config_selectorILNS1_17partition_subalgoE5EiNS0_10empty_typeEbEEZZNS1_14partition_implILS5_5ELb0ES3_mN6thrust23THRUST_200600_302600_NS17counting_iteratorIiNSA_11use_defaultESC_SC_EEPS6_NSA_18transform_iteratorINSA_8identityIiEENSA_6detail15normal_iteratorINSA_10device_ptrIiEEEESC_SC_EENS0_5tupleIJSM_S6_EEENSO_IJSE_SE_EEES6_PlJS6_EEE10hipError_tPvRmT3_T4_T5_T6_T7_T9_mT8_P12ihipStream_tbDpT10_ENKUlT_T0_E_clISt17integral_constantIbLb0EES1A_IbLb1EEEEDaS16_S17_EUlS16_E_NS1_11comp_targetILNS1_3genE9ELNS1_11target_archE1100ELNS1_3gpuE3ELNS1_3repE0EEENS1_30default_config_static_selectorELNS0_4arch9wavefront6targetE0EEEvT1_
    .private_segment_fixed_size: 0
    .sgpr_count:     0
    .sgpr_spill_count: 0
    .symbol:         _ZN7rocprim17ROCPRIM_400000_NS6detail17trampoline_kernelINS0_14default_configENS1_25partition_config_selectorILNS1_17partition_subalgoE5EiNS0_10empty_typeEbEEZZNS1_14partition_implILS5_5ELb0ES3_mN6thrust23THRUST_200600_302600_NS17counting_iteratorIiNSA_11use_defaultESC_SC_EEPS6_NSA_18transform_iteratorINSA_8identityIiEENSA_6detail15normal_iteratorINSA_10device_ptrIiEEEESC_SC_EENS0_5tupleIJSM_S6_EEENSO_IJSE_SE_EEES6_PlJS6_EEE10hipError_tPvRmT3_T4_T5_T6_T7_T9_mT8_P12ihipStream_tbDpT10_ENKUlT_T0_E_clISt17integral_constantIbLb0EES1A_IbLb1EEEEDaS16_S17_EUlS16_E_NS1_11comp_targetILNS1_3genE9ELNS1_11target_archE1100ELNS1_3gpuE3ELNS1_3repE0EEENS1_30default_config_static_selectorELNS0_4arch9wavefront6targetE0EEEvT1_.kd
    .uniform_work_group_size: 1
    .uses_dynamic_stack: false
    .vgpr_count:     0
    .vgpr_spill_count: 0
    .wavefront_size: 32
    .workgroup_processor_mode: 1
  - .args:
      - .offset:         0
        .size:           136
        .value_kind:     by_value
    .group_segment_fixed_size: 0
    .kernarg_segment_align: 8
    .kernarg_segment_size: 136
    .language:       OpenCL C
    .language_version:
      - 2
      - 0
    .max_flat_workgroup_size: 512
    .name:           _ZN7rocprim17ROCPRIM_400000_NS6detail17trampoline_kernelINS0_14default_configENS1_25partition_config_selectorILNS1_17partition_subalgoE5EiNS0_10empty_typeEbEEZZNS1_14partition_implILS5_5ELb0ES3_mN6thrust23THRUST_200600_302600_NS17counting_iteratorIiNSA_11use_defaultESC_SC_EEPS6_NSA_18transform_iteratorINSA_8identityIiEENSA_6detail15normal_iteratorINSA_10device_ptrIiEEEESC_SC_EENS0_5tupleIJSM_S6_EEENSO_IJSE_SE_EEES6_PlJS6_EEE10hipError_tPvRmT3_T4_T5_T6_T7_T9_mT8_P12ihipStream_tbDpT10_ENKUlT_T0_E_clISt17integral_constantIbLb0EES1A_IbLb1EEEEDaS16_S17_EUlS16_E_NS1_11comp_targetILNS1_3genE8ELNS1_11target_archE1030ELNS1_3gpuE2ELNS1_3repE0EEENS1_30default_config_static_selectorELNS0_4arch9wavefront6targetE0EEEvT1_
    .private_segment_fixed_size: 0
    .sgpr_count:     0
    .sgpr_spill_count: 0
    .symbol:         _ZN7rocprim17ROCPRIM_400000_NS6detail17trampoline_kernelINS0_14default_configENS1_25partition_config_selectorILNS1_17partition_subalgoE5EiNS0_10empty_typeEbEEZZNS1_14partition_implILS5_5ELb0ES3_mN6thrust23THRUST_200600_302600_NS17counting_iteratorIiNSA_11use_defaultESC_SC_EEPS6_NSA_18transform_iteratorINSA_8identityIiEENSA_6detail15normal_iteratorINSA_10device_ptrIiEEEESC_SC_EENS0_5tupleIJSM_S6_EEENSO_IJSE_SE_EEES6_PlJS6_EEE10hipError_tPvRmT3_T4_T5_T6_T7_T9_mT8_P12ihipStream_tbDpT10_ENKUlT_T0_E_clISt17integral_constantIbLb0EES1A_IbLb1EEEEDaS16_S17_EUlS16_E_NS1_11comp_targetILNS1_3genE8ELNS1_11target_archE1030ELNS1_3gpuE2ELNS1_3repE0EEENS1_30default_config_static_selectorELNS0_4arch9wavefront6targetE0EEEvT1_.kd
    .uniform_work_group_size: 1
    .uses_dynamic_stack: false
    .vgpr_count:     0
    .vgpr_spill_count: 0
    .wavefront_size: 32
    .workgroup_processor_mode: 1
  - .args:
      - .offset:         0
        .size:           16
        .value_kind:     by_value
      - .offset:         16
        .size:           8
        .value_kind:     by_value
      - .offset:         24
        .size:           8
        .value_kind:     by_value
    .group_segment_fixed_size: 0
    .kernarg_segment_align: 8
    .kernarg_segment_size: 32
    .language:       OpenCL C
    .language_version:
      - 2
      - 0
    .max_flat_workgroup_size: 256
    .name:           _ZN6thrust23THRUST_200600_302600_NS11hip_rocprim14__parallel_for6kernelILj256ENS1_20__uninitialized_copy7functorINS0_6detail15normal_iteratorINS0_10device_ptrIiEEEENS0_7pointerIiNS1_3tagENS0_11use_defaultESD_EEEEmLj1EEEvT0_T1_SH_
    .private_segment_fixed_size: 0
    .sgpr_count:     12
    .sgpr_spill_count: 0
    .symbol:         _ZN6thrust23THRUST_200600_302600_NS11hip_rocprim14__parallel_for6kernelILj256ENS1_20__uninitialized_copy7functorINS0_6detail15normal_iteratorINS0_10device_ptrIiEEEENS0_7pointerIiNS1_3tagENS0_11use_defaultESD_EEEEmLj1EEEvT0_T1_SH_.kd
    .uniform_work_group_size: 1
    .uses_dynamic_stack: false
    .vgpr_count:     5
    .vgpr_spill_count: 0
    .wavefront_size: 32
    .workgroup_processor_mode: 1
amdhsa.target:   amdgcn-amd-amdhsa--gfx1201
amdhsa.version:
  - 1
  - 2
...

	.end_amdgpu_metadata
